;; amdgpu-corpus repo=zjin-lcf/HeCBench kind=compiled arch=gfx1100 opt=O3
	.text
	.amdgcn_target "amdgcn-amd-amdhsa--gfx1100"
	.amdhsa_code_object_version 6
	.protected	_Z9secp256k1PK20secp256k1_ge_storagePh ; -- Begin function _Z9secp256k1PK20secp256k1_ge_storagePh
	.globl	_Z9secp256k1PK20secp256k1_ge_storagePh
	.p2align	8
	.type	_Z9secp256k1PK20secp256k1_ge_storagePh,@function
_Z9secp256k1PK20secp256k1_ge_storagePh: ; @_Z9secp256k1PK20secp256k1_ge_storagePh
; %bb.0:
	s_load_b128 s[0:3], s[0:1], 0x0
                                        ; implicit-def: $vgpr20 : SGPR spill to VGPR lane
	s_mov_b32 s25, 0
	s_mov_b64 s[56:57], 0
	s_mov_b32 s20, 1
	s_mov_b32 s61, s25
	;; [unrolled: 1-line block ×8, first 2 shown]
	s_mov_b64 s[54:55], 0
	s_mov_b32 s41, 1
	s_mov_b32 s43, 0
	;; [unrolled: 1-line block ×8, first 2 shown]
	s_waitcnt lgkmcnt(0)
	v_writelane_b32 v20, s0, 0
	s_mov_b32 s40, 0
	s_mov_b64 s[28:29], 0
	v_writelane_b32 v20, s1, 1
	v_writelane_b32 v20, s2, 2
	;; [unrolled: 1-line block ×3, first 2 shown]
	s_load_b512 s[0:15], s[0:1], 0x0
	s_waitcnt lgkmcnt(0)
	v_alignbit_b32 v0, s1, s0, 26
	v_alignbit_b32 v1, s2, s1, 20
	;; [unrolled: 1-line block ×14, first 2 shown]
	s_and_b32 s52, s0, 0x3ffffff
	s_bfe_u32 s51, s4, 0x1a0002
	s_lshr_b32 s76, s7, 10
	s_and_b32 s38, s8, 0x3ffffff
	s_bfe_u32 s36, s12, 0x1a0002
	v_readfirstlane_b32 s0, v0
	v_readfirstlane_b32 s1, v1
	;; [unrolled: 1-line block ×14, first 2 shown]
	s_lshr_b32 s39, s15, 10
	s_and_b32 s84, s0, 0x3ffffff
	s_and_b32 s85, s1, 0x3ffffff
	s_and_b32 s81, s2, 0x3ffffff
	s_and_b32 s82, s3, 0x3ffffff
	s_and_b32 s98, s4, 0x3ffffff
	s_and_b32 s79, s5, 0x3ffffff
	s_and_b32 s80, s6, 0x3ffffff
	s_and_b32 s50, s7, 0x3ffffff
	s_and_b32 s49, s8, 0x3ffffff
	s_and_b32 s47, s9, 0x3ffffff
	s_and_b32 s48, s10, 0x3ffffff
	s_and_b32 s95, s11, 0x3ffffff
	s_and_b32 s96, s12, 0x3ffffff
	s_and_b32 s46, s13, 0x3ffffff
	s_mov_b64 s[4:5], 0
.LBB0_1:                                ; =>This Inner Loop Header: Depth=1
	v_writelane_b32 v20, s57, 10
                                        ; implicit-def: $vgpr19 : SGPR spill to VGPR lane
	s_mul_i32 s71, s34, s34
	v_writelane_b32 v19, s20, 19
	s_mov_b64 s[20:21], s[54:55]
	s_mul_hi_u32 s24, s34, s34
	v_writelane_b32 v20, s83, 11
	s_mul_i32 s60, s41, s41
	v_writelane_b32 v19, s4, 20
	s_mul_hi_u32 s17, s41, s41
	s_mul_i32 s73, s35, s35
	v_writelane_b32 v20, s87, 12
	s_mul_hi_u32 s72, s35, s35
	v_writelane_b32 v19, s5, 21
	s_mul_i32 s70, s43, s43
	s_mul_hi_u32 s65, s43, s43
	v_writelane_b32 v20, s86, 13
	s_mov_b32 s44, s33
	v_writelane_b32 v20, s78, 14
	v_writelane_b32 v20, s56, 15
	;; [unrolled: 1-line block ×3, first 2 shown]
	s_delay_alu instid0(VALU_DEP_1) | instskip(SKIP_3) | instid1(VALU_DEP_4)
	v_readlane_b32 s0, v20, 0
	v_readlane_b32 s1, v20, 1
	;; [unrolled: 1-line block ×4, first 2 shown]
	s_add_u32 s0, s0, s4
	s_delay_alu instid0(VALU_DEP_3)
	s_addc_u32 s1, s1, s5
	s_lshl_b32 s18, s41, 1
	s_load_b512 s[0:15], s[0:1], 0x40
	s_lshl_b32 s59, s30, 1
	s_lshl_b32 s74, s31, 1
	s_mul_i32 s19, s29, s18
	s_mul_hi_u32 s22, s28, s18
	s_lshl_b32 s58, s42, 1
	s_lshl_b32 s57, s43, 1
	s_mul_hi_u32 s86, s59, s35
	s_add_i32 s22, s22, s19
	s_mul_hi_u32 s83, s58, s37
	s_mul_i32 s77, s57, s40
	s_mul_hi_u32 s75, s57, s40
	s_mul_i32 s23, s28, s18
	s_waitcnt lgkmcnt(0)
	v_alignbit_b32 v0, s1, s0, 26
	s_and_b32 s92, s0, 0x3ffffff
	v_alignbit_b32 v1, s2, s1, 20
	v_alignbit_b32 v2, s3, s2, 14
	;; [unrolled: 1-line block ×12, first 2 shown]
	v_readfirstlane_b32 s0, v0
	v_alignbit_b32 v0, s15, s14, 16
	s_bfe_u32 s90, s4, 0x1a0002
	s_lshr_b32 s16, s7, 10
	s_and_b32 s53, s8, 0x3ffffff
	s_bfe_u32 s54, s12, 0x1a0002
	s_lshr_b32 s55, s15, 10
	v_readfirstlane_b32 s4, v1
	v_readfirstlane_b32 s5, v2
	v_readfirstlane_b32 s6, v3
	v_readfirstlane_b32 s7, v4
	v_readfirstlane_b32 s8, v5
	v_readfirstlane_b32 s9, v6
	v_readfirstlane_b32 s10, v7
	v_readfirstlane_b32 s11, v8
	v_readfirstlane_b32 s12, v9
	v_readfirstlane_b32 s13, v10
	v_readfirstlane_b32 s14, v11
	v_readfirstlane_b32 s15, v12
	v_readfirstlane_b32 s66, v0
	s_mul_i32 s1, s59, s35
	s_mul_i32 s3, s74, s34
	s_mul_hi_u32 s2, s74, s34
	s_and_b32 s94, s0, 0x3ffffff
	s_and_b32 s93, s4, 0x3ffffff
	;; [unrolled: 1-line block ×14, first 2 shown]
	s_add_u32 s0, s1, s3
	s_mul_i32 s1, s58, s37
	s_addc_u32 s2, s86, s2
	s_add_u32 s0, s0, s1
	s_addc_u32 s1, s2, s83
	s_add_u32 s0, s0, s77
	;; [unrolled: 2-line block ×3, first 2 shown]
	s_mul_i32 s3, s29, s57
	s_mul_hi_u32 s4, s28, s57
	s_addc_u32 s1, s1, s22
	s_mul_i32 s9, s74, s35
	s_mul_hi_u32 s7, s74, s35
	s_add_i32 s4, s4, s3
	s_and_b32 s8, s0, 0x3ffffff
	s_lshr_b64 s[0:1], s[0:1], 26
	s_add_u32 s3, s9, s71
	s_mul_i32 s9, s59, s37
	s_addc_u32 s7, s7, s24
	s_mul_hi_u32 s10, s59, s37
	s_mul_i32 s6, s58, s40
	s_add_u32 s3, s3, s9
	s_mul_hi_u32 s5, s58, s40
	s_addc_u32 s7, s7, s10
	s_mul_i32 s2, s28, s57
	s_add_u32 s3, s3, s6
	s_addc_u32 s5, s7, s5
	s_add_u32 s2, s3, s2
	s_addc_u32 s3, s5, s4
	;; [unrolled: 2-line block ×3, first 2 shown]
	s_and_b32 s24, s0, 0x3ffffff
	s_lshr_b64 s[0:1], s[0:1], 26
	s_mul_i32 s2, s24, 0x3d10
	s_mul_hi_u32 s3, s24, 0x3d10
	s_add_u32 s2, s2, s60
	s_addc_u32 s3, s3, s17
	s_lshl_b32 s12, s34, 1
	s_mul_i32 s9, s29, s58
	s_mul_hi_u32 s10, s28, s58
	s_mul_i32 s7, s74, s37
	s_mul_i32 s11, s12, s35
	s_lshl_b64 s[4:5], s[24:25], 10
	s_add_i32 s10, s10, s9
	s_and_b32 s9, s2, 0x3fffffd
	s_lshr_b64 s[2:3], s[2:3], 26
	s_mul_hi_u32 s6, s74, s37
	s_add_u32 s7, s7, s11
	s_mul_hi_u32 s11, s12, s35
	s_mul_i32 s14, s74, s40
	s_addc_u32 s6, s6, s11
	s_mul_i32 s11, s59, s40
	s_mul_i32 s17, s12, s40
	s_add_u32 s7, s7, s11
	s_mul_hi_u32 s11, s59, s40
	s_mul_hi_u32 s15, s12, s40
	s_addc_u32 s6, s6, s11
	s_mul_i32 s11, s28, s58
	s_mul_i32 s22, s28, s74
	s_add_u32 s7, s7, s11
	s_addc_u32 s6, s6, s10
	s_add_u32 s0, s7, s0
	s_addc_u32 s1, s6, s1
	s_mul_i32 s7, s18, s43
	s_mul_hi_u32 s6, s18, s43
	s_and_b32 s24, s0, 0x3ffffff
	s_lshr_b64 s[0:1], s[0:1], 26
	s_add_u32 s4, s4, s7
	s_addc_u32 s5, s5, s6
	s_add_u32 s2, s4, s2
	s_mul_i32 s4, s24, 0x3d10
	s_addc_u32 s3, s5, s3
	s_mul_hi_u32 s5, s24, 0x3d10
	s_add_u32 s2, s2, s4
	s_mul_i32 s10, s29, s59
	s_mul_hi_u32 s6, s28, s59
	s_addc_u32 s3, s3, s5
	s_mul_i32 s7, s12, s37
	s_lshl_b64 s[4:5], s[24:25], 10
	s_add_i32 s6, s6, s10
	s_and_b32 s10, s2, 0x3ffffff
	s_lshr_b64 s[2:3], s[2:3], 26
	s_mul_hi_u32 s11, s12, s37
	s_add_u32 s7, s7, s73
	s_addc_u32 s11, s11, s72
	s_add_u32 s7, s7, s14
	s_mul_hi_u32 s14, s74, s40
	s_mul_hi_u32 s13, s42, s42
	s_addc_u32 s11, s11, s14
	s_mul_i32 s14, s28, s59
	s_delay_alu instid0(SALU_CYCLE_1)
	s_add_u32 s7, s7, s14
	s_addc_u32 s6, s11, s6
	s_add_u32 s0, s7, s0
	s_addc_u32 s1, s6, s1
	s_mul_i32 s6, s18, s42
	s_mul_hi_u32 s14, s18, s42
	s_and_b32 s24, s0, 0x3ffffff
	s_lshr_b64 s[0:1], s[0:1], 26
	s_add_u32 s6, s6, s70
	s_addc_u32 s14, s14, s65
	s_add_u32 s4, s6, s4
	s_mul_i32 s6, s24, 0x3d10
	s_addc_u32 s5, s14, s5
	s_mul_hi_u32 s14, s24, 0x3d10
	s_add_u32 s4, s4, s6
	s_mul_i32 s7, s29, s74
	s_mul_hi_u32 s11, s28, s74
	s_addc_u32 s5, s5, s14
	s_add_u32 s2, s4, s2
	s_addc_u32 s3, s5, s3
	s_add_i32 s6, s11, s7
	s_lshl_b32 s7, s35, 1
	s_lshl_b64 s[4:5], s[24:25], 10
	s_mul_i32 s14, s7, s37
	s_and_b32 s11, s2, 0x3ffffff
	s_lshr_b64 s[2:3], s[2:3], 26
	s_add_u32 s14, s17, s14
	s_mul_hi_u32 s17, s7, s37
	s_delay_alu instid0(SALU_CYCLE_1)
	s_addc_u32 s15, s15, s17
	s_add_u32 s14, s14, s22
	s_addc_u32 s6, s15, s6
	s_add_u32 s0, s14, s0
	s_addc_u32 s1, s6, s1
	s_mul_i32 s14, s18, s30
	s_mul_i32 s15, s57, s42
	s_and_b32 s24, s0, 0x3ffffff
	s_lshr_b64 s[0:1], s[0:1], 26
	s_mul_hi_u32 s6, s18, s30
	s_add_u32 s14, s14, s15
	s_mul_hi_u32 s15, s57, s42
	s_mul_i32 s22, s37, s37
	s_addc_u32 s6, s6, s15
	s_add_u32 s4, s14, s4
	s_mul_i32 s14, s24, 0x3d10
	s_addc_u32 s5, s6, s5
	s_add_u32 s4, s4, s14
	s_mul_hi_u32 s14, s24, 0x3d10
	s_mul_i32 s15, s29, s12
	s_addc_u32 s5, s5, s14
	s_add_u32 s2, s4, s2
	s_mul_hi_u32 s6, s28, s12
	s_addc_u32 s3, s5, s3
	s_mul_i32 s14, s7, s40
	s_mul_hi_u32 s17, s37, s37
	s_lshl_b64 s[4:5], s[24:25], 10
	s_add_i32 s6, s6, s15
	s_and_b32 s73, s2, 0x3ffffff
	s_lshr_b64 s[2:3], s[2:3], 26
	s_mul_hi_u32 s15, s7, s40
	s_add_u32 s14, s14, s22
	s_mul_i32 s12, s28, s12
	s_addc_u32 s15, s15, s17
	s_add_u32 s12, s14, s12
	s_addc_u32 s6, s15, s6
	s_add_u32 s0, s12, s0
	s_addc_u32 s1, s6, s1
	s_mul_i32 s17, s42, s42
	s_mul_i32 s15, s57, s30
	s_mul_hi_u32 s12, s57, s30
	s_and_b32 s24, s0, 0x3ffffff
	s_lshr_b64 s[0:1], s[0:1], 26
	s_add_u32 s15, s15, s17
	s_mul_i32 s17, s18, s31
	s_addc_u32 s12, s12, s13
	s_mul_hi_u32 s13, s18, s31
	s_add_u32 s15, s15, s17
	s_addc_u32 s12, s12, s13
	s_add_u32 s4, s15, s4
	s_addc_u32 s5, s12, s5
	s_mul_i32 s12, s24, 0x3d10
	s_mul_hi_u32 s15, s24, 0x3d10
	s_add_u32 s4, s4, s12
	s_addc_u32 s5, s5, s15
	s_add_u32 s2, s4, s2
	s_addc_u32 s3, s5, s3
	s_lshl_b32 s12, s37, 1
	s_mul_i32 s17, s29, s7
	s_mul_hi_u32 s13, s28, s7
	s_mul_i32 s7, s28, s7
	s_mul_i32 s15, s12, s40
	s_lshl_b64 s[4:5], s[24:25], 10
	s_add_i32 s13, s13, s17
	s_and_b32 s74, s2, 0x3ffffff
	s_lshr_b64 s[2:3], s[2:3], 26
	s_add_u32 s7, s7, s15
	s_mul_hi_u32 s15, s12, s40
	s_mul_hi_u32 s6, s40, s40
	s_addc_u32 s13, s13, s15
	s_add_u32 s0, s7, s0
	s_addc_u32 s1, s13, s1
	s_mul_i32 s13, s57, s31
	s_mul_i32 s15, s58, s30
	s_and_b32 s24, s0, 0x3ffffff
	s_lshr_b64 s[0:1], s[0:1], 26
	s_mul_hi_u32 s7, s57, s31
	s_add_u32 s13, s13, s15
	s_mul_hi_u32 s15, s58, s30
	s_mul_i32 s17, s58, s31
	s_addc_u32 s7, s7, s15
	s_mul_i32 s15, s18, s34
	s_mul_hi_u32 s14, s30, s30
	s_add_u32 s13, s13, s15
	s_mul_hi_u32 s15, s18, s34
	s_mul_i32 s22, s73, s88
	s_addc_u32 s7, s7, s15
	s_add_u32 s4, s13, s4
	s_mul_i32 s13, s24, 0x3d10
	s_addc_u32 s5, s7, s5
	s_add_u32 s4, s4, s13
	s_mul_hi_u32 s13, s24, 0x3d10
	s_mul_i32 s7, s29, s12
	s_addc_u32 s5, s5, s13
	s_add_u32 s2, s4, s2
	s_addc_u32 s3, s5, s3
	s_mul_hi_u32 s13, s28, s12
	s_mul_i32 s15, s40, s40
	s_mul_i32 s12, s28, s12
	s_lshl_b64 s[4:5], s[24:25], 10
	s_add_i32 s13, s13, s7
	s_and_b32 s75, s2, 0x3ffffff
	s_lshr_b64 s[2:3], s[2:3], 26
	s_add_u32 s7, s12, s15
	s_addc_u32 s6, s13, s6
	s_add_u32 s0, s7, s0
	s_addc_u32 s1, s6, s1
	s_mul_i32 s12, s30, s30
	s_mul_hi_u32 s15, s58, s31
	s_and_b32 s24, s0, 0x3ffffff
	s_lshr_b64 s[6:7], s[0:1], 26
	s_add_u32 s0, s17, s12
	s_mul_i32 s1, s57, s34
	s_addc_u32 s12, s15, s14
	s_mul_hi_u32 s14, s57, s34
	s_add_u32 s0, s0, s1
	s_mul_i32 s1, s18, s35
	s_addc_u32 s12, s12, s14
	s_mul_hi_u32 s14, s18, s35
	s_add_u32 s0, s0, s1
	s_addc_u32 s12, s12, s14
	s_mul_i32 s14, s24, 0x3d10
	s_add_u32 s0, s0, s4
	s_mul_hi_u32 s1, s24, 0x3d10
	s_addc_u32 s4, s12, s5
	s_add_u32 s0, s0, s14
	s_addc_u32 s1, s4, s1
	s_add_u32 s0, s0, s2
	s_addc_u32 s1, s1, s3
	s_lshl_b32 s2, s40, 1
	s_lshl_b64 s[4:5], s[24:25], 10
	s_mul_i32 s3, s29, s2
	s_mul_hi_u32 s12, s28, s2
	s_mul_i32 s2, s28, s2
	s_and_b32 s77, s0, 0x3ffffff
	s_lshr_b64 s[0:1], s[0:1], 26
	s_add_i32 s12, s12, s3
	s_add_u32 s2, s6, s2
	s_addc_u32 s3, s7, s12
	s_mul_i32 s7, s58, s34
	s_mul_i32 s12, s59, s31
	s_and_b32 s24, s2, 0x3ffffff
	s_lshr_b64 s[2:3], s[2:3], 26
	s_mul_hi_u32 s6, s58, s34
	s_add_u32 s7, s7, s12
	s_mul_hi_u32 s12, s59, s31
	s_mul_i32 s13, s28, s29
	s_addc_u32 s6, s6, s12
	s_mul_i32 s12, s57, s35
	s_mul_i32 s14, s28, s28
	s_add_u32 s7, s7, s12
	s_mul_hi_u32 s12, s57, s35
	s_mul_hi_u32 s15, s57, s37
	s_addc_u32 s6, s6, s12
	s_mul_i32 s12, s18, s37
	s_mul_hi_u32 s23, s73, s87
	s_add_u32 s7, s7, s12
	s_mul_hi_u32 s12, s18, s37
	s_delay_alu instid0(SALU_CYCLE_1)
	s_addc_u32 s6, s6, s12
	s_add_u32 s4, s7, s4
	s_addc_u32 s5, s6, s5
	s_mul_i32 s6, s24, 0x3d10
	s_mul_hi_u32 s12, s28, s28
	s_add_u32 s4, s4, s6
	s_mul_hi_u32 s6, s24, 0x3d10
	s_delay_alu instid0(SALU_CYCLE_1)
	s_addc_u32 s5, s5, s6
	s_add_u32 s0, s4, s0
	s_addc_u32 s1, s5, s1
	s_add_i32 s12, s12, s13
	s_lshl_b64 s[6:7], s[24:25], 10
	s_and_b32 s17, s0, 0x3ffffff
	s_lshr_b64 s[4:5], s[0:1], 26
	s_add_i32 s12, s12, s13
	s_add_u32 s2, s2, s14
	s_addc_u32 s3, s3, s12
	s_mul_i32 s12, s31, s31
	s_mul_i32 s13, s59, s34
	s_and_b32 s24, s2, 0x3ffffff
	s_lshr_b64 s[0:1], s[2:3], 26
	s_add_u32 s12, s13, s12
	s_mul_hi_u32 s13, s59, s34
	s_mul_hi_u32 s14, s31, s31
	v_alignbit_b32 v0, s3, s2, 26
	s_addc_u32 s13, s13, s14
	s_mul_i32 s14, s58, s35
	s_mul_i32 s2, s24, 0x3d10
	s_add_u32 s12, s12, s14
	s_mul_hi_u32 s14, s58, s35
	s_mul_i32 s58, s73, s87
	s_addc_u32 s13, s13, s14
	s_mul_i32 s14, s57, s37
	s_mul_hi_u32 s57, s73, s88
	s_add_u32 s12, s12, s14
	s_mul_hi_u32 s14, s18, s40
	s_mul_i32 s18, s18, s40
	s_addc_u32 s13, s13, s15
	s_add_u32 s12, s12, s18
	s_addc_u32 s13, s13, s14
	s_add_u32 s6, s12, s6
	;; [unrolled: 2-line block ×3, first 2 shown]
	s_mul_hi_u32 s6, s24, 0x3d10
	s_delay_alu instid0(SALU_CYCLE_1)
	s_addc_u32 s6, s7, s6
	s_add_u32 s4, s2, s4
	v_readfirstlane_b32 s2, v0
	s_addc_u32 s5, s6, s5
	s_lshr_b32 s3, s3, 26
	s_lshl_b64 s[6:7], s[24:25], 10
	s_mulk_i32 s3, 0x3d10
	s_mul_i32 s12, s2, 0x3d10
	s_mul_hi_u32 s2, s2, 0x3d10
	s_and_b32 s18, s4, 0x3ffffff
	s_add_i32 s3, s2, s3
	s_lshr_b64 s[4:5], s[4:5], 26
	s_add_u32 s8, s12, s8
	s_addc_u32 s3, s3, 0
	s_add_u32 s6, s8, s6
	s_addc_u32 s3, s3, s7
	;; [unrolled: 2-line block ×3, first 2 shown]
	s_lshl_b64 s[0:1], s[0:1], 14
	s_and_b32 s86, s4, 0x3fffff
	s_lshr_b64 s[4:5], s[4:5], 22
	s_mul_i32 s59, s18, s94
	s_add_u32 s0, s4, s0
	s_addc_u32 s1, s5, s1
	s_mul_hi_u32 s4, s0, 0x3d1
	s_mul_i32 s5, s1, 0x3d1
	s_mul_i32 s71, s86, s92
	s_add_i32 s5, s4, s5
	s_mul_i32 s4, s0, 0x3d1
	s_mul_i32 s3, s74, s90
	s_add_u32 s4, s4, s9
	s_addc_u32 s5, s5, 0
	s_lshl_b64 s[0:1], s[0:1], 6
	s_and_b32 s83, s4, 0x3ffffff
	s_lshr_b64 s[4:5], s[4:5], 26
	s_add_u32 s0, s0, s10
	s_addc_u32 s1, s1, 0
	s_add_u32 s0, s0, s4
	s_addc_u32 s1, s1, s5
	s_lshr_b32 s5, s76, 22
	v_alignbit_b32 v0, s1, s0, 26
	s_mul_i32 s1, s5, 0x3d1
	s_lshl_b32 s5, s5, 6
	s_add_i32 s1, s52, s1
	s_add_i32 s5, s84, s5
	s_lshr_b32 s9, s1, 26
	v_readfirstlane_b32 s84, v0
	s_add_i32 s5, s5, s9
	s_and_b32 s8, s76, 0x3fffff
	s_lshr_b32 s9, s5, 26
	s_mul_hi_u32 s4, s18, s94
	s_add_i32 s9, s9, s85
	s_add_i32 s84, s84, s11
	s_lshr_b32 s10, s9, 26
	s_and_b32 s12, s9, 0x3ffffff
	s_add_i32 s11, s10, s81
	s_mul_hi_u32 s7, s74, s90
	s_lshr_b32 s10, s11, 26
	s_and_b32 s14, s11, 0x3ffffff
	s_add_i32 s13, s10, s82
	s_mul_i32 s24, s74, s88
	s_lshr_b32 s10, s13, 26
	s_and_b32 s15, s13, 0x3ffffff
	s_add_i32 s51, s10, s51
	s_mul_hi_u32 s6, s74, s88
	s_lshr_b32 s10, s51, 26
	s_and_b32 s51, s51, 0x3ffffff
	s_add_i32 s60, s10, s98
	s_mul_i32 s2, s73, s19
	s_lshr_b32 s10, s60, 26
	s_and_b32 s9, s60, 0x3ffffff
	s_add_i32 s65, s10, s79
	s_and_b32 s79, s0, 0x3ffffff
	s_lshr_b32 s10, s65, 26
	s_and_b32 s11, s65, 0x3ffffff
	s_add_i32 s70, s10, s80
	s_and_b32 s10, s5, 0x3ffffff
	;; [unrolled: 4-line block ×3, first 2 shown]
	s_mul_hi_u32 s1, s86, s92
	s_add_u32 s0, s59, s71
	s_addc_u32 s1, s4, s1
	s_mul_i32 s4, s17, s93
	s_mul_i32 s5, s75, s90
	s_add_u32 s0, s0, s4
	s_mul_hi_u32 s4, s17, s93
	s_mul_i32 s59, s86, s93
	s_addc_u32 s1, s1, s4
	s_mul_i32 s4, s77, s91
	s_mul_i32 s85, s86, s53
	s_add_u32 s0, s0, s4
	s_mul_hi_u32 s4, s77, s91
	s_mul_i32 s60, s74, s62
	s_addc_u32 s1, s1, s4
	s_add_u32 s0, s0, s3
	s_mul_i32 s3, s75, s89
	s_mul_hi_u32 s4, s75, s89
	s_addc_u32 s1, s1, s7
	s_add_u32 s0, s0, s3
	s_addc_u32 s1, s1, s4
	s_add_u32 s0, s0, s22
	s_mul_i32 s7, s83, s16
	s_addc_u32 s1, s1, s57
	s_mul_hi_u32 s22, s83, s16
	s_add_u32 s0, s0, s7
	s_addc_u32 s1, s1, s22
	s_mul_i32 s22, s84, s87
	s_mul_i32 s7, s79, s19
	s_add_u32 s0, s0, s22
	s_mul_hi_u32 s22, s84, s87
	s_mul_i32 s4, s18, s93
	s_addc_u32 s1, s1, s22
	s_mul_hi_u32 s22, s79, s19
	s_add_u32 s0, s0, s7
	s_addc_u32 s1, s1, s22
	s_mul_i32 s7, s86, s94
	s_and_b32 s76, s0, 0x3ffffff
	s_lshr_b64 s[0:1], s[0:1], 26
	s_mul_hi_u32 s3, s18, s93
	s_add_u32 s4, s4, s7
	s_mul_hi_u32 s7, s86, s94
	s_mul_i32 s57, s18, s91
	s_addc_u32 s3, s3, s7
	s_mul_i32 s7, s17, s91
	s_mul_hi_u32 s22, s18, s91
	s_add_u32 s4, s4, s7
	s_mul_hi_u32 s7, s17, s91
	s_delay_alu instid0(SALU_CYCLE_1)
	s_addc_u32 s3, s3, s7
	s_mul_hi_u32 s7, s75, s90
	s_add_u32 s4, s4, s5
	s_mul_i32 s5, s77, s89
	s_addc_u32 s3, s3, s7
	s_mul_hi_u32 s7, s77, s89
	s_add_u32 s4, s4, s5
	s_addc_u32 s3, s3, s7
	s_add_u32 s4, s4, s24
	s_addc_u32 s3, s3, s6
	s_add_u32 s4, s4, s58
	s_mul_i32 s7, s79, s16
	s_addc_u32 s3, s3, s23
	s_add_u32 s4, s4, s7
	s_mul_hi_u32 s7, s79, s16
	s_mul_i32 s6, s83, s92
	s_addc_u32 s3, s3, s7
	s_mul_i32 s7, s84, s19
	s_mul_hi_u32 s5, s83, s92
	s_add_u32 s4, s4, s7
	s_mul_hi_u32 s7, s84, s19
	s_mul_hi_u32 s23, s86, s93
	s_addc_u32 s3, s3, s7
	s_add_u32 s0, s4, s0
	s_addc_u32 s1, s3, s1
	s_and_b32 s24, s0, 0x3ffffff
	s_lshr_b64 s[0:1], s[0:1], 26
	s_mul_i32 s3, s24, 0x3d10
	s_mul_hi_u32 s7, s24, 0x3d10
	s_add_u32 s4, s3, s6
	s_addc_u32 s5, s7, s5
	s_lshl_b64 s[6:7], s[24:25], 10
	s_and_b32 s78, s4, 0x3ffffff
	s_lshr_b64 s[4:5], s[4:5], 26
	s_add_u32 s3, s57, s59
	s_addc_u32 s22, s22, s23
	s_mul_i32 s23, s77, s90
	s_mul_hi_u32 s57, s17, s90
	s_add_u32 s3, s3, s23
	s_mul_hi_u32 s23, s77, s90
	s_mul_i32 s58, s73, s62
	s_addc_u32 s22, s22, s23
	s_mul_i32 s23, s17, s89
	s_delay_alu instid0(SALU_CYCLE_1) | instskip(SKIP_1) | instid1(SALU_CYCLE_1)
	s_add_u32 s3, s3, s23
	s_mul_hi_u32 s23, s17, s89
	s_addc_u32 s22, s22, s23
	s_mul_i32 s23, s75, s88
	s_delay_alu instid0(SALU_CYCLE_1) | instskip(SKIP_1) | instid1(SALU_CYCLE_1)
	s_add_u32 s3, s3, s23
	s_mul_hi_u32 s23, s75, s88
	;; [unrolled: 5-line block ×4, first 2 shown]
	s_addc_u32 s22, s22, s23
	s_mul_hi_u32 s23, s73, s19
	s_add_u32 s2, s3, s2
	s_addc_u32 s3, s22, s23
	s_add_u32 s0, s2, s0
	s_addc_u32 s1, s3, s1
	s_mul_i32 s3, s83, s94
	s_mul_i32 s22, s79, s92
	s_and_b32 s24, s0, 0x3ffffff
	s_lshr_b64 s[0:1], s[0:1], 26
	s_mul_hi_u32 s2, s83, s94
	s_add_u32 s3, s3, s22
	s_mul_hi_u32 s22, s79, s92
	s_mul_i32 s23, s79, s94
	s_addc_u32 s2, s2, s22
	s_add_u32 s3, s3, s6
	s_addc_u32 s2, s2, s7
	s_mul_i32 s7, s24, 0x3d10
	s_add_u32 s3, s3, s4
	s_addc_u32 s4, s2, s5
	s_mul_hi_u32 s5, s24, 0x3d10
	s_add_u32 s2, s3, s7
	s_addc_u32 s3, s4, s5
	s_mul_i32 s22, s17, s90
	s_mul_i32 s6, s86, s91
	s_lshl_b64 s[4:5], s[24:25], 10
	s_and_b32 s80, s2, 0x3ffffff
	s_lshr_b64 s[2:3], s[2:3], 26
	s_mul_hi_u32 s7, s86, s91
	s_add_u32 s6, s22, s6
	s_mul_i32 s22, s18, s89
	s_addc_u32 s7, s57, s7
	s_add_u32 s6, s6, s22
	s_mul_hi_u32 s22, s18, s89
	s_mul_i32 s57, s84, s92
	s_addc_u32 s7, s7, s22
	s_mul_i32 s22, s77, s88
	s_delay_alu instid0(SALU_CYCLE_1) | instskip(SKIP_1) | instid1(SALU_CYCLE_1)
	s_add_u32 s6, s6, s22
	s_mul_hi_u32 s22, s77, s88
	s_addc_u32 s7, s7, s22
	s_mul_i32 s22, s75, s87
	s_delay_alu instid0(SALU_CYCLE_1) | instskip(SKIP_1) | instid1(SALU_CYCLE_1)
	s_add_u32 s6, s6, s22
	s_mul_hi_u32 s22, s75, s87
	;; [unrolled: 5-line block ×4, first 2 shown]
	s_addc_u32 s7, s7, s22
	s_add_u32 s0, s6, s0
	s_addc_u32 s1, s7, s1
	s_mul_hi_u32 s22, s79, s94
	s_and_b32 s24, s0, 0x3ffffff
	s_lshr_b64 s[6:7], s[0:1], 26
	s_mul_hi_u32 s1, s84, s92
	s_add_u32 s0, s23, s57
	s_addc_u32 s1, s22, s1
	s_mul_i32 s22, s83, s93
	s_mul_i32 s23, s86, s16
	s_add_u32 s0, s0, s22
	s_mul_hi_u32 s22, s83, s93
	s_mul_hi_u32 s57, s73, s62
	s_addc_u32 s1, s1, s22
	s_add_u32 s0, s0, s4
	s_addc_u32 s1, s1, s5
	s_mul_i32 s5, s24, 0x3d10
	s_mul_i32 s22, s18, s90
	s_add_u32 s0, s0, s5
	s_mul_hi_u32 s5, s24, 0x3d10
	s_mul_i32 s4, s86, s89
	s_addc_u32 s1, s1, s5
	s_add_u32 s0, s0, s2
	s_addc_u32 s1, s1, s3
	s_lshl_b64 s[2:3], s[24:25], 10
	s_and_b32 s81, s0, 0x3ffffff
	s_lshr_b64 s[0:1], s[0:1], 26
	s_add_u32 s4, s4, s22
	s_mul_hi_u32 s5, s18, s90
	s_mul_hi_u32 s22, s86, s89
	s_delay_alu instid0(SALU_CYCLE_1) | instskip(SKIP_1) | instid1(SALU_CYCLE_1)
	s_addc_u32 s5, s22, s5
	s_mul_i32 s22, s17, s88
	s_add_u32 s4, s4, s22
	s_mul_hi_u32 s22, s17, s88
	s_delay_alu instid0(SALU_CYCLE_1) | instskip(SKIP_1) | instid1(SALU_CYCLE_1)
	s_addc_u32 s5, s5, s22
	s_mul_i32 s22, s74, s16
	s_add_u32 s4, s4, s22
	;; [unrolled: 5-line block ×4, first 2 shown]
	s_mul_hi_u32 s22, s75, s19
	s_delay_alu instid0(SALU_CYCLE_1)
	s_addc_u32 s5, s5, s22
	s_add_u32 s4, s4, s6
	s_addc_u32 s5, s5, s7
	s_mul_i32 s6, s73, s92
	s_mul_i32 s7, s84, s94
	s_and_b32 s24, s4, 0x3ffffff
	s_lshr_b64 s[4:5], s[4:5], 26
	s_add_u32 s6, s7, s6
	s_mul_hi_u32 s7, s73, s92
	s_mul_hi_u32 s22, s84, s94
	s_delay_alu instid0(SALU_CYCLE_1) | instskip(SKIP_1) | instid1(SALU_CYCLE_1)
	s_addc_u32 s7, s22, s7
	s_mul_i32 s22, s79, s93
	s_add_u32 s6, s6, s22
	s_mul_hi_u32 s22, s79, s93
	s_delay_alu instid0(SALU_CYCLE_1) | instskip(SKIP_1) | instid1(SALU_CYCLE_1)
	s_addc_u32 s7, s7, s22
	s_mul_i32 s22, s83, s91
	s_add_u32 s6, s6, s22
	s_mul_hi_u32 s22, s83, s91
	s_delay_alu instid0(SALU_CYCLE_1)
	s_addc_u32 s7, s7, s22
	s_add_u32 s2, s6, s2
	s_addc_u32 s3, s7, s3
	s_mul_i32 s7, s24, 0x3d10
	s_mul_i32 s6, s18, s88
	s_add_u32 s2, s2, s7
	s_mul_hi_u32 s7, s24, 0x3d10
	s_mul_hi_u32 s22, s86, s90
	s_addc_u32 s3, s3, s7
	s_add_u32 s0, s2, s0
	s_addc_u32 s1, s3, s1
	s_mul_i32 s7, s86, s90
	s_and_b32 s65, s0, 0x3ffffff
	s_lshr_b64 s[0:1], s[0:1], 26
	s_lshl_b64 s[2:3], s[24:25], 10
	s_add_u32 s6, s6, s7
	s_mul_hi_u32 s7, s18, s88
	s_delay_alu instid0(SALU_CYCLE_1) | instskip(SKIP_1) | instid1(SALU_CYCLE_1)
	s_addc_u32 s7, s7, s22
	s_mul_i32 s22, s75, s16
	s_add_u32 s6, s6, s22
	s_mul_hi_u32 s22, s75, s16
	s_delay_alu instid0(SALU_CYCLE_1) | instskip(SKIP_1) | instid1(SALU_CYCLE_1)
	s_addc_u32 s7, s7, s22
	s_mul_i32 s22, s17, s87
	;; [unrolled: 5-line block ×3, first 2 shown]
	s_add_u32 s6, s6, s22
	s_mul_hi_u32 s22, s77, s19
	s_delay_alu instid0(SALU_CYCLE_1)
	s_addc_u32 s7, s7, s22
	s_add_u32 s4, s6, s4
	s_addc_u32 s5, s7, s5
	s_mul_i32 s6, s73, s94
	s_mul_i32 s7, s74, s92
	s_and_b32 s24, s4, 0x3ffffff
	s_lshr_b64 s[4:5], s[4:5], 26
	s_add_u32 s6, s6, s7
	s_mul_hi_u32 s7, s73, s94
	s_mul_hi_u32 s22, s74, s92
	s_delay_alu instid0(SALU_CYCLE_1) | instskip(SKIP_1) | instid1(SALU_CYCLE_1)
	s_addc_u32 s7, s7, s22
	s_mul_i32 s22, s84, s93
	s_add_u32 s6, s6, s22
	s_mul_hi_u32 s22, s84, s93
	s_delay_alu instid0(SALU_CYCLE_1) | instskip(SKIP_1) | instid1(SALU_CYCLE_1)
	s_addc_u32 s7, s7, s22
	s_mul_i32 s22, s79, s91
	s_add_u32 s6, s6, s22
	;; [unrolled: 5-line block ×3, first 2 shown]
	s_mul_hi_u32 s22, s83, s89
	s_delay_alu instid0(SALU_CYCLE_1)
	s_addc_u32 s7, s7, s22
	s_add_u32 s2, s6, s2
	s_mul_i32 s6, s24, 0x3d10
	s_addc_u32 s3, s7, s3
	s_add_u32 s2, s2, s6
	s_mul_hi_u32 s6, s24, 0x3d10
	s_mul_hi_u32 s22, s86, s88
	s_addc_u32 s3, s3, s6
	s_add_u32 s0, s2, s0
	s_addc_u32 s1, s3, s1
	s_mul_i32 s2, s77, s16
	s_mul_i32 s3, s86, s88
	s_and_b32 s70, s0, 0x3ffffff
	s_lshr_b64 s[0:1], s[0:1], 26
	s_lshl_b64 s[6:7], s[24:25], 10
	s_add_u32 s2, s2, s3
	s_mul_hi_u32 s3, s77, s16
	s_delay_alu instid0(SALU_CYCLE_1) | instskip(SKIP_1) | instid1(SALU_CYCLE_1)
	s_addc_u32 s3, s3, s22
	s_mul_i32 s22, s18, s87
	s_add_u32 s2, s2, s22
	s_mul_hi_u32 s22, s18, s87
	s_delay_alu instid0(SALU_CYCLE_1) | instskip(SKIP_1) | instid1(SALU_CYCLE_1)
	s_addc_u32 s3, s3, s22
	s_mul_i32 s22, s17, s19
	s_add_u32 s2, s2, s22
	s_mul_hi_u32 s22, s17, s19
	s_delay_alu instid0(SALU_CYCLE_1)
	s_addc_u32 s3, s3, s22
	s_add_u32 s2, s2, s4
	s_addc_u32 s3, s3, s5
	s_mul_i32 s4, s74, s94
	s_mul_i32 s5, s75, s92
	s_and_b32 s24, s2, 0x3ffffff
	s_lshr_b64 s[2:3], s[2:3], 26
	s_add_u32 s4, s4, s5
	s_mul_hi_u32 s5, s74, s94
	s_mul_hi_u32 s22, s75, s92
	s_delay_alu instid0(SALU_CYCLE_1) | instskip(SKIP_1) | instid1(SALU_CYCLE_1)
	s_addc_u32 s5, s5, s22
	s_mul_i32 s22, s73, s93
	s_add_u32 s4, s4, s22
	s_mul_hi_u32 s22, s73, s93
	s_delay_alu instid0(SALU_CYCLE_1) | instskip(SKIP_1) | instid1(SALU_CYCLE_1)
	s_addc_u32 s5, s5, s22
	s_mul_i32 s22, s84, s91
	s_add_u32 s4, s4, s22
	;; [unrolled: 5-line block ×4, first 2 shown]
	s_mul_hi_u32 s22, s79, s89
	s_delay_alu instid0(SALU_CYCLE_1)
	s_addc_u32 s5, s5, s22
	s_add_u32 s4, s4, s6
	s_mul_i32 s6, s24, 0x3d10
	s_addc_u32 s5, s5, s7
	s_add_u32 s4, s4, s6
	s_mul_hi_u32 s6, s24, 0x3d10
	s_mul_i32 s7, s86, s87
	s_addc_u32 s5, s5, s6
	s_add_u32 s0, s4, s0
	s_addc_u32 s1, s5, s1
	s_mul_i32 s6, s17, s16
	s_and_b32 s71, s0, 0x3ffffff
	s_lshr_b64 s[0:1], s[0:1], 26
	s_lshl_b64 s[4:5], s[24:25], 10
	s_add_u32 s6, s7, s6
	s_mul_hi_u32 s7, s17, s16
	s_mul_hi_u32 s22, s86, s87
	s_delay_alu instid0(SALU_CYCLE_1) | instskip(SKIP_1) | instid1(SALU_CYCLE_1)
	s_addc_u32 s7, s22, s7
	s_mul_i32 s22, s18, s19
	s_add_u32 s6, s6, s22
	s_mul_hi_u32 s22, s18, s19
	s_delay_alu instid0(SALU_CYCLE_1)
	s_addc_u32 s7, s7, s22
	s_add_u32 s2, s6, s2
	s_addc_u32 s3, s7, s3
	s_and_b32 s24, s2, 0x3ffffff
	s_lshr_b64 s[6:7], s[2:3], 26
	s_mul_i32 s2, s75, s94
	s_mul_i32 s3, s77, s92
	s_mul_hi_u32 s22, s77, s92
	s_add_u32 s2, s2, s3
	s_mul_hi_u32 s3, s75, s94
	s_delay_alu instid0(SALU_CYCLE_1) | instskip(SKIP_1) | instid1(SALU_CYCLE_1)
	s_addc_u32 s3, s3, s22
	s_mul_i32 s22, s74, s93
	s_add_u32 s2, s2, s22
	s_mul_hi_u32 s22, s74, s93
	s_delay_alu instid0(SALU_CYCLE_1) | instskip(SKIP_1) | instid1(SALU_CYCLE_1)
	s_addc_u32 s3, s3, s22
	s_mul_i32 s22, s73, s91
	;; [unrolled: 5-line block ×5, first 2 shown]
	s_add_u32 s2, s2, s22
	s_mul_hi_u32 s22, s83, s88
	s_delay_alu instid0(SALU_CYCLE_1)
	s_addc_u32 s3, s3, s22
	s_add_u32 s2, s2, s4
	s_mul_i32 s4, s24, 0x3d10
	s_addc_u32 s3, s3, s5
	s_add_u32 s2, s2, s4
	s_mul_hi_u32 s4, s24, 0x3d10
	s_mul_i32 s5, s86, s19
	s_addc_u32 s3, s3, s4
	s_add_u32 s0, s2, s0
	s_addc_u32 s1, s3, s1
	s_mul_i32 s4, s18, s16
	s_and_b32 s72, s0, 0x3ffffff
	s_lshr_b64 s[0:1], s[0:1], 26
	s_lshl_b64 s[2:3], s[24:25], 10
	s_add_u32 s4, s5, s4
	s_mul_hi_u32 s5, s18, s16
	s_mul_hi_u32 s22, s86, s19
	s_delay_alu instid0(SALU_CYCLE_1)
	s_addc_u32 s5, s22, s5
	s_add_u32 s4, s4, s6
	s_addc_u32 s5, s5, s7
	s_and_b32 s24, s4, 0x3ffffff
	s_lshr_b64 s[6:7], s[4:5], 26
	s_mul_i32 s4, s77, s94
	s_mul_i32 s5, s17, s92
	s_mul_hi_u32 s22, s17, s92
	s_add_u32 s4, s4, s5
	s_mul_hi_u32 s5, s77, s94
	s_delay_alu instid0(SALU_CYCLE_1) | instskip(SKIP_1) | instid1(SALU_CYCLE_1)
	s_addc_u32 s5, s5, s22
	s_mul_i32 s22, s75, s93
	s_add_u32 s4, s4, s22
	s_mul_hi_u32 s22, s75, s93
	s_delay_alu instid0(SALU_CYCLE_1) | instskip(SKIP_1) | instid1(SALU_CYCLE_1)
	s_addc_u32 s5, s5, s22
	s_mul_i32 s22, s74, s91
	;; [unrolled: 5-line block ×6, first 2 shown]
	s_add_u32 s4, s4, s22
	s_mul_hi_u32 s22, s83, s87
	s_delay_alu instid0(SALU_CYCLE_1)
	s_addc_u32 s5, s5, s22
	s_add_u32 s2, s4, s2
	s_mul_i32 s4, s24, 0x3d10
	s_addc_u32 s3, s5, s3
	s_add_u32 s2, s2, s4
	s_mul_hi_u32 s4, s24, 0x3d10
	s_mul_hi_u32 s22, s86, s16
	s_addc_u32 s3, s3, s4
	s_add_u32 s0, s2, s0
	s_addc_u32 s1, s3, s1
	s_and_b32 s16, s0, 0x3ffffff
	s_lshr_b64 s[2:3], s[0:1], 26
	s_lshl_b64 s[4:5], s[24:25], 10
	s_add_u32 s0, s6, s23
	s_addc_u32 s1, s7, s22
	s_mul_i32 s6, s17, s94
	s_mul_i32 s7, s18, s92
	s_and_b32 s24, s0, 0x3ffffff
	v_alignbit_b32 v0, s1, s0, 26
	s_lshr_b64 s[0:1], s[0:1], 26
	s_add_u32 s6, s6, s7
	s_mul_hi_u32 s7, s17, s94
	s_mul_hi_u32 s22, s18, s92
	;; [unrolled: 1-line block ×3, first 2 shown]
	s_addc_u32 s7, s7, s22
	s_mul_i32 s22, s77, s93
	s_delay_alu instid0(SALU_CYCLE_1) | instskip(SKIP_1) | instid1(SALU_CYCLE_1)
	s_add_u32 s6, s6, s22
	s_mul_hi_u32 s22, s77, s93
	s_addc_u32 s7, s7, s22
	s_mul_i32 s22, s75, s91
	s_delay_alu instid0(SALU_CYCLE_1) | instskip(SKIP_1) | instid1(SALU_CYCLE_1)
	s_add_u32 s6, s6, s22
	s_mul_hi_u32 s22, s75, s91
	;; [unrolled: 5-line block ×5, first 2 shown]
	s_addc_u32 s7, s7, s22
	s_mul_i32 s22, s79, s87
	s_delay_alu instid0(SALU_CYCLE_1)
	s_add_u32 s6, s6, s22
	s_addc_u32 s7, s7, s23
	s_mul_i32 s23, s83, s19
	s_mul_hi_u32 s19, s83, s19
	s_add_u32 s6, s6, s23
	s_addc_u32 s7, s7, s19
	s_add_u32 s4, s6, s4
	s_mul_i32 s6, s24, 0x3d10
	s_mul_hi_u32 s19, s24, 0x3d10
	s_addc_u32 s5, s7, s5
	v_readfirstlane_b32 s7, v0
	s_add_u32 s4, s4, s6
	s_addc_u32 s5, s5, s19
	s_add_u32 s2, s4, s2
	s_addc_u32 s3, s5, s3
	s_mul_i32 s59, s7, 0x3d10
	s_lshl_b64 s[4:5], s[24:25], 10
	s_and_b32 s6, s2, 0x3ffffff
	s_lshr_b64 s[88:89], s[2:3], 26
	s_mul_hi_u32 s7, s7, 0x3d10
	s_add_u32 s3, s59, s76
	s_addc_u32 s7, s7, 0
	s_add_u32 s3, s3, s4
	s_addc_u32 s5, s7, s5
	;; [unrolled: 2-line block ×3, first 2 shown]
	s_lshl_b64 s[0:1], s[0:1], 14
	s_and_b32 s7, s4, 0x3fffff
	s_lshr_b64 s[4:5], s[4:5], 22
	s_mul_i32 s3, s74, s54
	s_add_u32 s0, s4, s0
	s_addc_u32 s1, s5, s1
	s_mul_hi_u32 s4, s0, 0x3d1
	s_mul_i32 s5, s1, 0x3d1
	s_mul_hi_u32 s24, s74, s54
	s_add_i32 s5, s4, s5
	s_mul_i32 s4, s0, 0x3d1
	s_mul_hi_u32 s59, s74, s62
	s_add_u32 s4, s4, s78
	s_addc_u32 s5, s5, 0
	s_lshl_b64 s[0:1], s[0:1], 6
	s_and_b32 s19, s4, 0x3ffffff
	s_lshr_b64 s[4:5], s[4:5], 26
	s_add_u32 s0, s0, s80
	s_addc_u32 s1, s1, 0
	s_add_u32 s0, s0, s4
	s_addc_u32 s1, s1, s5
	s_lshr_b32 s5, s39, 22
	v_alignbit_b32 v0, s1, s0, 26
	s_mul_i32 s1, s5, 0x3d1
	s_lshl_b32 s5, s5, 6
	s_add_i32 s1, s38, s1
	s_and_b32 s38, s39, 0x3fffff
	s_add_i32 s5, s50, s5
	s_lshr_b32 s39, s1, 26
	v_readfirstlane_b32 s76, v0
	s_add_i32 s5, s5, s39
	s_mul_i32 s80, s18, s64
	s_lshr_b32 s39, s5, 26
	s_mul_hi_u32 s4, s18, s64
	s_add_i32 s39, s39, s49
	s_add_i32 s76, s76, s81
	s_lshr_b32 s49, s39, 26
	s_and_b32 s26, s0, 0x3ffffff
	s_add_i32 s49, s49, s47
	s_and_b32 s78, s1, 0x3ffffff
	s_lshr_b32 s47, s49, 26
	s_mul_hi_u32 s1, s86, s53
	s_add_i32 s47, s47, s48
	s_mul_i32 s23, s73, s63
	s_lshr_b32 s48, s47, 26
	s_mul_hi_u32 s22, s73, s63
	s_add_i32 s50, s48, s36
	s_and_b32 s48, s49, 0x3ffffff
	s_lshr_b32 s36, s50, 26
	s_and_b32 s49, s47, 0x3ffffff
	s_add_i32 s81, s36, s95
	s_and_b32 s50, s50, 0x3ffffff
	s_lshr_b32 s36, s81, 26
	s_and_b32 s94, s81, 0x3ffffff
	s_add_i32 s45, s36, s96
	s_mul_i32 s2, s73, s66
	s_lshr_b32 s36, s45, 26
	s_delay_alu instid0(SALU_CYCLE_1)
	s_add_i32 s82, s36, s46
	s_and_b32 s46, s39, 0x3ffffff
	s_lshr_b32 s36, s82, 26
	s_and_b32 s39, s45, 0x3ffffff
	s_add_i32 s36, s36, s38
	s_and_b32 s38, s5, 0x3ffffff
	s_and_b32 s47, s82, 0x3ffffff
	s_add_u32 s0, s80, s85
	s_addc_u32 s1, s4, s1
	s_mul_i32 s4, s17, s67
	s_mul_i32 s5, s75, s54
	s_add_u32 s0, s0, s4
	s_mul_hi_u32 s4, s17, s67
	s_mul_i32 s80, s18, s68
	s_addc_u32 s1, s1, s4
	s_mul_i32 s4, s77, s68
	s_mov_b32 s45, s61
	s_add_u32 s0, s0, s4
	s_mul_hi_u32 s4, s77, s68
	s_delay_alu instid0(SALU_CYCLE_1)
	s_addc_u32 s1, s1, s4
	s_add_u32 s0, s0, s3
	s_mul_i32 s3, s75, s69
	s_mul_hi_u32 s4, s75, s69
	s_addc_u32 s1, s1, s24
	s_add_u32 s0, s0, s3
	s_addc_u32 s1, s1, s4
	s_add_u32 s0, s0, s58
	s_addc_u32 s1, s1, s57
	s_mul_i32 s57, s84, s63
	s_mul_i32 s24, s83, s55
	s_add_u32 s0, s0, s57
	s_mul_hi_u32 s57, s84, s63
	s_mul_i32 s4, s18, s67
	s_addc_u32 s1, s1, s57
	s_mul_hi_u32 s57, s83, s55
	s_add_u32 s0, s0, s24
	s_mul_i32 s24, s79, s66
	s_addc_u32 s1, s1, s57
	s_mul_hi_u32 s57, s79, s66
	s_add_u32 s0, s0, s24
	s_addc_u32 s1, s1, s57
	s_mul_i32 s24, s86, s64
	s_and_b32 s85, s0, 0x3ffffff
	s_lshr_b64 s[0:1], s[0:1], 26
	s_mul_hi_u32 s3, s18, s67
	s_add_u32 s4, s4, s24
	s_mul_hi_u32 s24, s86, s64
	s_mul_hi_u32 s57, s18, s68
	s_addc_u32 s3, s3, s24
	s_mul_i32 s24, s17, s68
	s_delay_alu instid0(SALU_CYCLE_1) | instskip(SKIP_1) | instid1(SALU_CYCLE_1)
	s_add_u32 s4, s4, s24
	s_mul_hi_u32 s24, s17, s68
	s_addc_u32 s3, s3, s24
	s_mul_hi_u32 s24, s75, s54
	s_add_u32 s4, s4, s5
	s_mul_i32 s5, s77, s69
	s_addc_u32 s3, s3, s24
	s_mul_hi_u32 s24, s77, s69
	s_add_u32 s4, s4, s5
	s_addc_u32 s3, s3, s24
	s_add_u32 s4, s4, s60
	s_addc_u32 s3, s3, s59
	;; [unrolled: 2-line block ×3, first 2 shown]
	s_mul_i32 s22, s79, s55
	s_mul_i32 s23, s83, s53
	s_add_u32 s4, s4, s22
	s_mul_hi_u32 s22, s79, s55
	s_mul_hi_u32 s5, s83, s53
	s_addc_u32 s3, s3, s22
	s_mul_i32 s22, s84, s66
	s_mul_i32 s60, s86, s67
	s_add_u32 s4, s4, s22
	s_mul_hi_u32 s22, s84, s66
	s_delay_alu instid0(SALU_CYCLE_1)
	s_addc_u32 s3, s3, s22
	s_add_u32 s0, s4, s0
	s_addc_u32 s1, s3, s1
	s_and_b32 s24, s0, 0x3ffffff
	s_lshr_b64 s[0:1], s[0:1], 26
	s_mul_i32 s3, s24, 0x3d10
	s_mul_hi_u32 s22, s24, 0x3d10
	s_add_u32 s4, s3, s23
	s_addc_u32 s5, s22, s5
	s_lshl_b64 s[58:59], s[24:25], 10
	s_and_b32 s88, s4, 0x3ffffff
	s_lshr_b64 s[4:5], s[4:5], 26
	s_mul_hi_u32 s22, s86, s67
	s_add_u32 s3, s80, s60
	s_mul_i32 s23, s77, s54
	s_addc_u32 s22, s57, s22
	s_add_u32 s3, s3, s23
	s_mul_hi_u32 s23, s77, s54
	s_mul_hi_u32 s57, s17, s54
	s_addc_u32 s22, s22, s23
	s_mul_i32 s23, s17, s69
	s_mul_i32 s60, s18, s53
	s_add_u32 s3, s3, s23
	s_mul_hi_u32 s23, s17, s69
	s_delay_alu instid0(SALU_CYCLE_1) | instskip(SKIP_1) | instid1(SALU_CYCLE_1)
	s_addc_u32 s22, s22, s23
	s_mul_i32 s23, s75, s62
	s_add_u32 s3, s3, s23
	s_mul_hi_u32 s23, s75, s62
	s_delay_alu instid0(SALU_CYCLE_1) | instskip(SKIP_1) | instid1(SALU_CYCLE_1)
	s_addc_u32 s22, s22, s23
	;; [unrolled: 5-line block ×3, first 2 shown]
	s_mul_i32 s23, s84, s55
	s_add_u32 s3, s3, s23
	s_mul_hi_u32 s23, s84, s55
	s_delay_alu instid0(SALU_CYCLE_1)
	s_addc_u32 s22, s22, s23
	s_mul_hi_u32 s23, s73, s66
	s_add_u32 s2, s3, s2
	s_addc_u32 s3, s22, s23
	s_add_u32 s0, s2, s0
	s_addc_u32 s1, s3, s1
	s_mul_i32 s3, s83, s64
	s_mul_i32 s22, s79, s53
	s_and_b32 s24, s0, 0x3ffffff
	s_lshr_b64 s[0:1], s[0:1], 26
	s_mul_hi_u32 s2, s83, s64
	s_add_u32 s3, s3, s22
	s_mul_hi_u32 s22, s79, s53
	s_mul_i32 s23, s86, s68
	s_addc_u32 s2, s2, s22
	s_add_u32 s3, s3, s58
	s_addc_u32 s2, s2, s59
	s_mul_i32 s58, s24, 0x3d10
	s_add_u32 s3, s3, s4
	s_addc_u32 s4, s2, s5
	s_mul_hi_u32 s5, s24, 0x3d10
	s_add_u32 s2, s3, s58
	s_addc_u32 s3, s4, s5
	s_mul_i32 s22, s17, s54
	s_lshl_b64 s[4:5], s[24:25], 10
	s_and_b32 s89, s2, 0x3ffffff
	s_lshr_b64 s[2:3], s[2:3], 26
	s_add_u32 s22, s22, s23
	s_mul_hi_u32 s23, s86, s68
	s_mul_i32 s24, s18, s69
	s_addc_u32 s23, s57, s23
	s_add_u32 s22, s22, s24
	s_mul_hi_u32 s24, s18, s69
	s_mul_i32 s57, s84, s53
	s_addc_u32 s23, s23, s24
	s_mul_i32 s24, s77, s62
	s_delay_alu instid0(SALU_CYCLE_1) | instskip(SKIP_1) | instid1(SALU_CYCLE_1)
	s_add_u32 s22, s22, s24
	s_mul_hi_u32 s24, s77, s62
	s_addc_u32 s23, s23, s24
	s_mul_i32 s24, s75, s63
	s_delay_alu instid0(SALU_CYCLE_1) | instskip(SKIP_1) | instid1(SALU_CYCLE_1)
	s_add_u32 s22, s22, s24
	s_mul_hi_u32 s24, s75, s63
	;; [unrolled: 5-line block ×4, first 2 shown]
	s_addc_u32 s23, s23, s24
	s_add_u32 s0, s22, s0
	s_addc_u32 s1, s23, s1
	s_mul_i32 s23, s79, s64
	s_mul_hi_u32 s22, s79, s64
	s_and_b32 s24, s0, 0x3ffffff
	s_lshr_b64 s[58:59], s[0:1], 26
	s_mul_hi_u32 s1, s84, s53
	s_add_u32 s0, s23, s57
	s_addc_u32 s1, s22, s1
	s_mul_i32 s22, s83, s67
	s_mul_i32 s23, s84, s64
	s_add_u32 s0, s0, s22
	s_mul_hi_u32 s22, s83, s67
	s_mul_hi_u32 s57, s84, s64
	s_addc_u32 s1, s1, s22
	s_add_u32 s0, s0, s4
	s_addc_u32 s1, s1, s5
	s_mul_i32 s5, s24, 0x3d10
	s_mul_i32 s22, s18, s54
	s_add_u32 s0, s0, s5
	s_mul_hi_u32 s5, s24, 0x3d10
	s_mul_i32 s4, s86, s69
	s_addc_u32 s1, s1, s5
	s_add_u32 s0, s0, s2
	s_addc_u32 s1, s1, s3
	s_lshl_b64 s[2:3], s[24:25], 10
	s_and_b32 s90, s0, 0x3ffffff
	s_lshr_b64 s[0:1], s[0:1], 26
	s_add_u32 s4, s4, s22
	s_mul_hi_u32 s5, s18, s54
	s_mul_hi_u32 s22, s86, s69
	s_delay_alu instid0(SALU_CYCLE_1) | instskip(SKIP_1) | instid1(SALU_CYCLE_1)
	s_addc_u32 s5, s22, s5
	s_mul_i32 s22, s17, s62
	s_add_u32 s4, s4, s22
	s_mul_hi_u32 s22, s17, s62
	s_delay_alu instid0(SALU_CYCLE_1) | instskip(SKIP_1) | instid1(SALU_CYCLE_1)
	s_addc_u32 s5, s5, s22
	s_mul_i32 s22, s77, s63
	s_add_u32 s4, s4, s22
	;; [unrolled: 5-line block ×4, first 2 shown]
	s_mul_hi_u32 s22, s75, s66
	s_delay_alu instid0(SALU_CYCLE_1)
	s_addc_u32 s5, s5, s22
	s_add_u32 s4, s4, s58
	s_addc_u32 s5, s5, s59
	s_mul_i32 s22, s73, s53
	s_and_b32 s24, s4, 0x3ffffff
	s_lshr_b64 s[4:5], s[4:5], 26
	s_add_u32 s22, s23, s22
	s_mul_hi_u32 s23, s73, s53
	s_mul_hi_u32 s58, s73, s54
	s_addc_u32 s23, s57, s23
	s_mul_i32 s57, s79, s67
	s_mul_hi_u32 s59, s18, s53
	s_add_u32 s22, s22, s57
	s_mul_hi_u32 s57, s79, s67
	s_delay_alu instid0(SALU_CYCLE_1) | instskip(SKIP_1) | instid1(SALU_CYCLE_1)
	s_addc_u32 s23, s23, s57
	s_mul_i32 s57, s83, s68
	s_add_u32 s22, s22, s57
	s_mul_hi_u32 s57, s83, s68
	s_delay_alu instid0(SALU_CYCLE_1)
	s_addc_u32 s23, s23, s57
	s_add_u32 s2, s22, s2
	s_addc_u32 s3, s23, s3
	s_mul_i32 s23, s24, 0x3d10
	s_mul_i32 s22, s18, s62
	s_add_u32 s2, s2, s23
	s_mul_hi_u32 s23, s24, 0x3d10
	s_mul_hi_u32 s57, s74, s53
	s_addc_u32 s3, s3, s23
	s_add_u32 s0, s2, s0
	s_addc_u32 s1, s3, s1
	s_mul_i32 s23, s86, s54
	s_and_b32 s81, s0, 0x3ffffff
	s_lshr_b64 s[0:1], s[0:1], 26
	s_lshl_b64 s[2:3], s[24:25], 10
	s_add_u32 s22, s22, s23
	s_mul_hi_u32 s23, s18, s62
	s_mul_hi_u32 s24, s86, s54
	s_delay_alu instid0(SALU_CYCLE_1) | instskip(SKIP_1) | instid1(SALU_CYCLE_1)
	s_addc_u32 s23, s23, s24
	s_mul_i32 s24, s17, s63
	s_add_u32 s22, s22, s24
	s_mul_hi_u32 s24, s17, s63
	s_delay_alu instid0(SALU_CYCLE_1) | instskip(SKIP_1) | instid1(SALU_CYCLE_1)
	s_addc_u32 s23, s23, s24
	s_mul_i32 s24, s75, s55
	s_add_u32 s22, s22, s24
	;; [unrolled: 5-line block ×3, first 2 shown]
	s_mul_hi_u32 s24, s77, s66
	s_delay_alu instid0(SALU_CYCLE_1)
	s_addc_u32 s23, s23, s24
	s_add_u32 s4, s22, s4
	s_addc_u32 s5, s23, s5
	s_mul_i32 s22, s73, s64
	s_mul_i32 s23, s74, s53
	s_and_b32 s24, s4, 0x3ffffff
	s_lshr_b64 s[4:5], s[4:5], 26
	s_add_u32 s22, s22, s23
	s_mul_hi_u32 s23, s73, s64
	s_delay_alu instid0(SALU_CYCLE_1) | instskip(SKIP_1) | instid1(SALU_CYCLE_1)
	s_addc_u32 s23, s23, s57
	s_mul_i32 s57, s84, s67
	s_add_u32 s22, s22, s57
	s_mul_hi_u32 s57, s84, s67
	s_delay_alu instid0(SALU_CYCLE_1) | instskip(SKIP_1) | instid1(SALU_CYCLE_1)
	s_addc_u32 s23, s23, s57
	s_mul_i32 s57, s79, s68
	;; [unrolled: 5-line block ×3, first 2 shown]
	s_add_u32 s22, s22, s57
	s_mul_hi_u32 s57, s83, s69
	s_delay_alu instid0(SALU_CYCLE_1)
	s_addc_u32 s23, s23, s57
	s_add_u32 s2, s22, s2
	s_mul_i32 s22, s24, 0x3d10
	s_addc_u32 s3, s23, s3
	s_add_u32 s2, s2, s22
	s_mul_hi_u32 s22, s24, 0x3d10
	s_mul_i32 s23, s86, s62
	s_addc_u32 s3, s3, s22
	s_add_u32 s0, s2, s0
	s_addc_u32 s1, s3, s1
	s_mul_i32 s22, s18, s63
	s_and_b32 s80, s0, 0x3ffffff
	s_lshr_b64 s[0:1], s[0:1], 26
	s_lshl_b64 s[2:3], s[24:25], 10
	s_add_u32 s22, s22, s23
	s_mul_hi_u32 s23, s18, s63
	s_mul_hi_u32 s24, s86, s62
	;; [unrolled: 1-line block ×3, first 2 shown]
	s_addc_u32 s23, s23, s24
	s_mul_i32 s24, s77, s55
	s_delay_alu instid0(SALU_CYCLE_1) | instskip(SKIP_1) | instid1(SALU_CYCLE_1)
	s_add_u32 s22, s22, s24
	s_mul_hi_u32 s24, s77, s55
	s_addc_u32 s23, s23, s24
	s_mul_i32 s24, s17, s66
	s_delay_alu instid0(SALU_CYCLE_1) | instskip(SKIP_1) | instid1(SALU_CYCLE_1)
	s_add_u32 s22, s22, s24
	s_mul_hi_u32 s24, s17, s66
	s_addc_u32 s23, s23, s24
	s_add_u32 s4, s22, s4
	s_addc_u32 s5, s23, s5
	s_mul_i32 s22, s74, s64
	s_mul_i32 s23, s75, s53
	s_and_b32 s24, s4, 0x3ffffff
	s_lshr_b64 s[4:5], s[4:5], 26
	s_add_u32 s22, s22, s23
	s_mul_hi_u32 s23, s74, s64
	s_delay_alu instid0(SALU_CYCLE_1) | instskip(SKIP_1) | instid1(SALU_CYCLE_1)
	s_addc_u32 s23, s23, s57
	s_mul_i32 s57, s73, s67
	s_add_u32 s22, s22, s57
	s_mul_hi_u32 s57, s73, s67
	s_delay_alu instid0(SALU_CYCLE_1) | instskip(SKIP_1) | instid1(SALU_CYCLE_1)
	s_addc_u32 s23, s23, s57
	s_mul_i32 s57, s84, s68
	;; [unrolled: 5-line block ×4, first 2 shown]
	s_add_u32 s22, s22, s57
	s_mul_hi_u32 s57, s79, s69
	s_delay_alu instid0(SALU_CYCLE_1)
	s_addc_u32 s23, s23, s57
	s_add_u32 s2, s22, s2
	s_mul_i32 s22, s24, 0x3d10
	s_addc_u32 s3, s23, s3
	s_add_u32 s2, s2, s22
	s_mul_hi_u32 s22, s24, 0x3d10
	s_mul_i32 s23, s86, s63
	s_addc_u32 s3, s3, s22
	s_add_u32 s0, s2, s0
	s_addc_u32 s1, s3, s1
	s_mul_i32 s22, s17, s55
	s_and_b32 s82, s0, 0x3ffffff
	s_lshr_b64 s[0:1], s[0:1], 26
	s_lshl_b64 s[2:3], s[24:25], 10
	s_add_u32 s22, s22, s23
	s_mul_hi_u32 s23, s17, s55
	s_mul_hi_u32 s24, s86, s63
	;; [unrolled: 1-line block ×3, first 2 shown]
	s_addc_u32 s23, s23, s24
	s_mul_i32 s24, s18, s66
	s_delay_alu instid0(SALU_CYCLE_1) | instskip(SKIP_1) | instid1(SALU_CYCLE_1)
	s_add_u32 s22, s22, s24
	s_mul_hi_u32 s24, s18, s66
	s_addc_u32 s23, s23, s24
	s_add_u32 s4, s22, s4
	s_addc_u32 s5, s23, s5
	s_mul_i32 s22, s75, s64
	s_mul_i32 s23, s77, s53
	s_and_b32 s24, s4, 0x3ffffff
	s_lshr_b64 s[4:5], s[4:5], 26
	s_add_u32 s22, s22, s23
	s_mul_hi_u32 s23, s75, s64
	s_delay_alu instid0(SALU_CYCLE_1) | instskip(SKIP_1) | instid1(SALU_CYCLE_1)
	s_addc_u32 s23, s23, s57
	s_mul_i32 s57, s74, s67
	s_add_u32 s22, s22, s57
	s_mul_hi_u32 s57, s74, s67
	s_delay_alu instid0(SALU_CYCLE_1) | instskip(SKIP_1) | instid1(SALU_CYCLE_1)
	s_addc_u32 s23, s23, s57
	s_mul_i32 s57, s73, s68
	;; [unrolled: 5-line block ×5, first 2 shown]
	s_add_u32 s22, s22, s57
	s_mul_hi_u32 s57, s83, s62
	s_delay_alu instid0(SALU_CYCLE_1)
	s_addc_u32 s23, s23, s57
	s_add_u32 s2, s22, s2
	s_mul_i32 s22, s24, 0x3d10
	s_addc_u32 s3, s23, s3
	s_add_u32 s2, s2, s22
	s_mul_hi_u32 s22, s24, 0x3d10
	s_mul_i32 s23, s86, s66
	s_addc_u32 s3, s3, s22
	s_add_u32 s0, s2, s0
	s_addc_u32 s1, s3, s1
	s_mul_i32 s22, s18, s55
	s_and_b32 s87, s0, 0x3ffffff
	s_lshr_b64 s[0:1], s[0:1], 26
	s_lshl_b64 s[2:3], s[24:25], 10
	s_add_u32 s22, s23, s22
	s_mul_hi_u32 s23, s18, s55
	s_mul_hi_u32 s24, s86, s66
	;; [unrolled: 1-line block ×3, first 2 shown]
	s_addc_u32 s23, s24, s23
	s_add_u32 s4, s22, s4
	s_addc_u32 s5, s23, s5
	s_mul_i32 s22, s77, s64
	s_mul_i32 s23, s17, s53
	s_and_b32 s24, s4, 0x3ffffff
	s_lshr_b64 s[4:5], s[4:5], 26
	s_add_u32 s22, s22, s23
	s_mul_hi_u32 s23, s77, s64
	s_mul_hi_u32 s18, s79, s63
	s_addc_u32 s23, s23, s57
	s_mul_i32 s57, s75, s67
	s_mul_hi_u32 s53, s84, s62
	s_add_u32 s22, s22, s57
	s_mul_hi_u32 s57, s75, s67
	s_delay_alu instid0(SALU_CYCLE_1) | instskip(SKIP_1) | instid1(SALU_CYCLE_1)
	s_addc_u32 s23, s23, s57
	s_mul_i32 s57, s74, s68
	s_add_u32 s22, s22, s57
	s_mul_hi_u32 s57, s74, s68
	s_delay_alu instid0(SALU_CYCLE_1) | instskip(SKIP_1) | instid1(SALU_CYCLE_1)
	s_addc_u32 s23, s23, s57
	s_mul_i32 s57, s84, s54
	s_add_u32 s22, s22, s57
	s_mul_hi_u32 s57, s84, s54
	s_mul_i32 s84, s84, s62
	s_addc_u32 s23, s23, s57
	s_mul_i32 s57, s73, s69
	s_delay_alu instid0(SALU_CYCLE_1) | instskip(SKIP_1) | instid1(SALU_CYCLE_1)
	s_add_u32 s22, s22, s57
	s_mul_hi_u32 s57, s73, s69
	s_addc_u32 s23, s23, s57
	s_mul_i32 s57, s79, s62
	s_delay_alu instid0(SALU_CYCLE_1)
	s_add_u32 s22, s22, s57
	s_mul_hi_u32 s57, s79, s62
	s_mul_i32 s79, s79, s63
	s_addc_u32 s23, s23, s57
	s_mul_i32 s57, s83, s63
	s_mul_i32 s62, s81, s37
	s_add_u32 s22, s22, s57
	s_mul_hi_u32 s57, s83, s63
	s_delay_alu instid0(SALU_CYCLE_1)
	s_addc_u32 s23, s23, s57
	s_add_u32 s2, s22, s2
	s_mul_i32 s22, s24, 0x3d10
	s_addc_u32 s3, s23, s3
	s_add_u32 s2, s2, s22
	s_mul_hi_u32 s22, s24, 0x3d10
	s_mul_i32 s57, s17, s64
	s_addc_u32 s3, s3, s22
	s_add_u32 s0, s2, s0
	s_addc_u32 s1, s3, s1
	s_mul_hi_u32 s22, s86, s55
	s_mul_i32 s86, s86, s55
	s_and_b32 s55, s0, 0x3ffffff
	s_lshr_b64 s[0:1], s[0:1], 26
	s_lshl_b64 s[2:3], s[24:25], 10
	s_add_u32 s4, s4, s86
	s_addc_u32 s5, s5, s22
	s_mul_i32 s86, s73, s54
	s_mul_hi_u32 s54, s17, s64
	s_and_b32 s24, s4, 0x3ffffff
	v_alignbit_b32 v0, s5, s4, 26
	s_lshr_b64 s[4:5], s[4:5], 26
	s_mul_hi_u32 s23, s77, s67
	s_mul_i32 s77, s77, s67
	s_add_u32 s57, s57, s60
	s_addc_u32 s54, s54, s59
	s_mul_hi_u32 s22, s75, s68
	s_mul_i32 s75, s75, s68
	s_add_u32 s57, s57, s77
	s_addc_u32 s23, s54, s23
	s_add_u32 s63, s57, s75
	s_addc_u32 s22, s23, s22
	s_mul_hi_u32 s73, s74, s69
	s_mul_i32 s74, s74, s69
	s_add_u32 s23, s63, s86
	s_addc_u32 s22, s22, s58
	s_add_u32 s23, s23, s74
	s_addc_u32 s22, s22, s73
	;; [unrolled: 2-line block ×3, first 2 shown]
	s_mul_hi_u32 s17, s83, s66
	s_mul_i32 s83, s83, s66
	s_add_u32 s23, s23, s79
	s_addc_u32 s18, s22, s18
	s_add_u32 s22, s23, s83
	s_addc_u32 s17, s18, s17
	;; [unrolled: 2-line block ×3, first 2 shown]
	s_mul_i32 s17, s24, 0x3d10
	s_mul_hi_u32 s18, s24, 0x3d10
	v_readfirstlane_b32 s22, v0
	s_add_u32 s2, s2, s17
	s_addc_u32 s3, s3, s18
	s_add_u32 s2, s2, s0
	s_addc_u32 s3, s3, s1
	s_mul_i32 s17, s22, 0x3d10
	s_lshl_b64 s[92:93], s[24:25], 10
	s_and_b32 s1, s2, 0x3ffffff
	s_lshr_b64 s[2:3], s[2:3], 26
	s_add_u32 s0, s17, s85
	s_mul_hi_u32 s17, s22, 0x3d10
	s_mul_i32 s60, s81, s35
	s_addc_u32 s17, s17, 0
	s_add_u32 s0, s0, s92
	s_addc_u32 s17, s17, s93
	s_add_u32 s2, s0, s2
	s_addc_u32 s3, s17, s3
	s_lshl_b64 s[4:5], s[4:5], 14
	s_and_b32 s18, s2, 0x3fffff
	s_lshr_b64 s[2:3], s[2:3], 22
	s_mul_i32 s0, s80, s34
	s_add_u32 s2, s2, s4
	s_addc_u32 s3, s3, s5
	s_mul_hi_u32 s4, s2, 0x3d1
	s_mul_i32 s5, s3, 0x3d1
	s_mul_hi_u32 s59, s81, s35
	s_add_i32 s5, s4, s5
	s_mul_i32 s4, s2, 0x3d1
	s_mul_hi_u32 s22, s80, s34
	s_add_u32 s4, s4, s88
	s_addc_u32 s5, s5, 0
	s_lshl_b64 s[84:85], s[2:3], 6
	s_and_b32 s2, s4, 0x3ffffff
	s_lshr_b64 s[4:5], s[4:5], 26
	s_add_u32 s3, s84, s89
	s_addc_u32 s23, s85, 0
	s_add_u32 s4, s3, s4
	s_addc_u32 s5, s23, s5
	s_and_b32 s3, s4, 0x3ffffff
	s_lshr_b64 s[4:5], s[4:5], 26
	s_mul_i32 s23, s2, s29
	s_add_u32 s4, s4, s90
	s_mul_hi_u32 s24, s2, s28
	s_addc_u32 s53, s5, 0
	s_add_i32 s24, s24, s23
	s_mul_hi_u32 s5, s4, s37
	s_mul_i32 s23, s53, s37
	s_mul_hi_u32 s54, s81, s37
	s_add_i32 s5, s5, s23
	s_add_u32 s0, s0, s60
	s_addc_u32 s22, s22, s59
	s_mul_i32 s59, s82, s31
	s_mul_i32 s23, s80, s35
	s_add_u32 s0, s0, s59
	s_mul_hi_u32 s59, s82, s31
	s_mul_hi_u32 s17, s80, s35
	s_addc_u32 s22, s22, s59
	s_mul_i32 s59, s87, s30
	s_mul_i32 s67, s81, s40
	s_add_u32 s0, s0, s59
	s_mul_hi_u32 s59, s87, s30
	s_mul_i32 s60, s80, s37
	s_addc_u32 s22, s22, s59
	s_mul_i32 s59, s55, s42
	s_mul_hi_u32 s57, s81, s40
	s_add_u32 s0, s0, s59
	s_mul_hi_u32 s59, s55, s42
	s_mul_i32 s58, s81, s29
	s_addc_u32 s22, s22, s59
	s_mul_i32 s59, s1, s43
	s_mul_hi_u32 s69, s81, s28
	s_add_u32 s0, s0, s59
	s_mul_hi_u32 s59, s1, s43
	s_mul_i32 s73, s81, s28
	s_addc_u32 s22, s22, s59
	s_mul_i32 s59, s18, s41
	s_mul_i32 s64, s81, s41
	s_add_u32 s0, s0, s59
	s_mul_hi_u32 s59, s18, s41
	s_mul_hi_u32 s63, s81, s41
	s_addc_u32 s22, s22, s59
	s_mul_i32 s59, s2, s28
	s_mul_i32 s68, s81, s43
	s_add_u32 s0, s0, s59
	s_mul_i32 s59, s3, s40
	s_addc_u32 s22, s22, s24
	s_mul_hi_u32 s24, s3, s40
	s_add_u32 s0, s0, s59
	s_addc_u32 s22, s22, s24
	s_mul_i32 s24, s4, s37
	s_mul_i32 s59, s3, s29
	s_add_u32 s84, s0, s24
	s_addc_u32 s85, s22, s5
	s_mul_hi_u32 s0, s3, s28
	s_mul_hi_u32 s5, s4, s40
	s_mul_i32 s22, s53, s40
	s_add_i32 s0, s0, s59
	s_add_i32 s22, s5, s22
	s_and_b32 s5, s84, 0x3ffffff
	s_lshr_b64 s[84:85], s[84:85], 26
	s_add_u32 s23, s23, s62
	s_mul_i32 s24, s82, s34
	s_addc_u32 s17, s17, s54
	s_mul_hi_u32 s54, s82, s34
	s_add_u32 s23, s23, s24
	s_mul_i32 s24, s87, s31
	s_addc_u32 s17, s17, s54
	s_mul_hi_u32 s54, s87, s31
	;; [unrolled: 4-line block ×5, first 2 shown]
	s_add_u32 s23, s23, s24
	s_mul_i32 s24, s3, s28
	s_addc_u32 s17, s17, s54
	s_add_u32 s23, s23, s24
	s_addc_u32 s0, s17, s0
	s_mul_i32 s17, s4, s40
	s_mul_i32 s54, s2, s41
	s_add_u32 s17, s23, s17
	s_addc_u32 s0, s0, s22
	s_add_u32 s84, s17, s84
	s_addc_u32 s85, s0, s85
	s_and_b32 s24, s84, 0x3ffffff
	s_mul_hi_u32 s59, s2, s41
	s_mul_i32 s17, s24, 0x3d10
	s_mul_i32 s23, s4, s29
	s_mul_hi_u32 s0, s4, s28
	s_lshr_b64 s[84:85], s[84:85], 26
	s_mul_hi_u32 s22, s24, 0x3d10
	s_add_u32 s88, s17, s54
	s_addc_u32 s89, s22, s59
	s_mul_i32 s17, s53, s28
	s_add_i32 s0, s0, s23
	s_lshl_b64 s[90:91], s[24:25], 10
	s_add_i32 s0, s0, s17
	s_and_b32 s17, s88, 0x3ffffff
	s_lshr_b64 s[88:89], s[88:89], 26
	s_mul_hi_u32 s23, s80, s37
	s_add_u32 s22, s60, s67
	s_mul_i32 s24, s82, s35
	s_addc_u32 s23, s23, s57
	s_add_u32 s22, s22, s24
	s_mul_hi_u32 s24, s82, s35
	s_mul_hi_u32 s54, s4, s41
	s_addc_u32 s23, s23, s24
	s_mul_i32 s24, s87, s34
	s_mul_i32 s57, s80, s40
	s_add_u32 s22, s22, s24
	s_mul_hi_u32 s24, s87, s34
	s_mul_i32 s67, s82, s40
	s_addc_u32 s23, s23, s24
	s_mul_i32 s24, s55, s31
	s_mul_hi_u32 s66, s81, s43
	s_add_u32 s22, s22, s24
	s_mul_hi_u32 s24, s55, s31
	s_mul_i32 s77, s55, s40
	s_addc_u32 s23, s23, s24
	s_mul_i32 s24, s1, s30
	s_mul_i32 s75, s81, s42
	s_add_u32 s22, s22, s24
	s_mul_hi_u32 s24, s1, s30
	s_mul_hi_u32 s74, s81, s42
	s_addc_u32 s23, s23, s24
	s_mul_i32 s24, s18, s42
	s_mul_i32 s79, s55, s28
	s_add_u32 s22, s22, s24
	s_mul_hi_u32 s24, s18, s42
	s_mul_hi_u32 s60, s81, s30
	s_addc_u32 s23, s23, s24
	s_mul_i32 s24, s4, s28
	s_mul_i32 s83, s18, s40
	s_add_u32 s22, s22, s24
	s_addc_u32 s0, s23, s0
	s_add_u32 s84, s22, s84
	s_addc_u32 s85, s0, s85
	s_mul_i32 s22, s2, s43
	s_mul_i32 s23, s3, s41
	s_and_b32 s24, s84, 0x3ffffff
	s_lshr_b64 s[84:85], s[84:85], 26
	s_mul_hi_u32 s0, s2, s43
	s_add_u32 s22, s23, s22
	s_mul_hi_u32 s23, s3, s41
	s_mul_i32 s59, s24, 0x3d10
	s_addc_u32 s0, s23, s0
	s_add_u32 s22, s22, s90
	s_addc_u32 s0, s0, s91
	s_add_u32 s22, s22, s88
	s_addc_u32 s0, s0, s89
	s_mul_hi_u32 s62, s24, 0x3d10
	s_add_u32 s88, s22, s59
	s_addc_u32 s89, s0, s62
	s_mul_i32 s0, s53, s41
	s_mul_hi_u32 s23, s80, s40
	s_add_i32 s0, s54, s0
	s_lshl_b64 s[90:91], s[24:25], 10
	s_add_i32 s69, s69, s58
	s_and_b32 s54, s88, 0x3ffffff
	s_lshr_b64 s[58:59], s[88:89], 26
	s_add_u32 s22, s57, s73
	s_mul_i32 s24, s82, s37
	s_addc_u32 s23, s23, s69
	s_add_u32 s22, s22, s24
	s_mul_hi_u32 s24, s82, s37
	s_mul_i32 s62, s3, s43
	s_addc_u32 s23, s23, s24
	s_mul_i32 s24, s87, s35
	s_mul_i32 s57, s80, s29
	s_add_u32 s22, s22, s24
	s_mul_hi_u32 s24, s87, s35
	s_mul_i32 s73, s87, s28
	s_addc_u32 s23, s23, s24
	s_mul_i32 s24, s55, s34
	s_delay_alu instid0(SALU_CYCLE_1) | instskip(SKIP_1) | instid1(SALU_CYCLE_1)
	s_add_u32 s22, s22, s24
	s_mul_hi_u32 s24, s55, s34
	s_addc_u32 s23, s23, s24
	s_mul_i32 s24, s1, s31
	s_delay_alu instid0(SALU_CYCLE_1) | instskip(SKIP_1) | instid1(SALU_CYCLE_1)
	s_add_u32 s22, s22, s24
	s_mul_hi_u32 s24, s1, s31
	;; [unrolled: 5-line block ×3, first 2 shown]
	s_addc_u32 s23, s23, s24
	s_add_u32 s84, s22, s84
	s_addc_u32 s85, s23, s85
	s_mul_i32 s23, s2, s42
	s_and_b32 s24, s84, 0x3ffffff
	s_lshr_b64 s[84:85], s[84:85], 26
	s_mul_hi_u32 s22, s2, s42
	s_add_u32 s23, s62, s23
	s_mul_hi_u32 s62, s3, s43
	s_mul_i32 s69, s24, 0x3d10
	s_addc_u32 s22, s62, s22
	s_mul_i32 s62, s4, s41
	s_delay_alu instid0(SALU_CYCLE_1)
	s_add_u32 s23, s23, s62
	s_addc_u32 s0, s22, s0
	s_add_u32 s23, s23, s90
	s_addc_u32 s0, s0, s91
	s_add_u32 s23, s23, s69
	s_mul_hi_u32 s69, s24, 0x3d10
	s_mul_hi_u32 s62, s80, s28
	s_addc_u32 s0, s0, s69
	s_add_u32 s58, s23, s58
	s_addc_u32 s59, s0, s59
	s_mul_hi_u32 s0, s4, s43
	s_mul_i32 s23, s53, s43
	s_mul_i32 s22, s80, s28
	s_add_i32 s23, s0, s23
	s_lshl_b64 s[88:89], s[24:25], 10
	s_add_i32 s62, s62, s57
	s_and_b32 s0, s58, 0x3ffffff
	s_lshr_b64 s[58:59], s[58:59], 26
	s_mul_hi_u32 s24, s82, s40
	s_add_u32 s22, s67, s22
	s_mul_i32 s57, s87, s37
	s_addc_u32 s24, s24, s62
	s_add_u32 s22, s22, s57
	s_mul_hi_u32 s57, s87, s37
	s_mul_i32 s62, s2, s30
	s_addc_u32 s24, s24, s57
	s_mul_i32 s57, s55, s35
	s_mul_i32 s67, s82, s28
	s_add_u32 s22, s22, s57
	s_mul_hi_u32 s57, s55, s35
	s_mul_i32 s69, s87, s40
	s_addc_u32 s24, s24, s57
	s_mul_i32 s57, s1, s34
	s_delay_alu instid0(SALU_CYCLE_1) | instskip(SKIP_1) | instid1(SALU_CYCLE_1)
	s_add_u32 s22, s22, s57
	s_mul_hi_u32 s57, s1, s34
	s_addc_u32 s24, s24, s57
	s_mul_i32 s57, s18, s31
	s_delay_alu instid0(SALU_CYCLE_1) | instskip(SKIP_1) | instid1(SALU_CYCLE_1)
	s_add_u32 s22, s22, s57
	s_mul_hi_u32 s57, s18, s31
	s_addc_u32 s24, s24, s57
	s_add_u32 s84, s22, s84
	s_addc_u32 s85, s24, s85
	s_and_b32 s24, s84, 0x3ffffff
	s_lshr_b64 s[84:85], s[84:85], 26
	s_add_u32 s62, s62, s64
	s_mul_hi_u32 s64, s2, s30
	s_mul_i32 s57, s82, s29
	s_addc_u32 s63, s64, s63
	s_mul_i32 s64, s3, s42
	s_mul_i32 s22, s81, s30
	s_add_u32 s62, s62, s64
	s_mul_hi_u32 s64, s3, s42
	s_delay_alu instid0(SALU_CYCLE_1) | instskip(SKIP_1) | instid1(SALU_CYCLE_1)
	s_addc_u32 s63, s63, s64
	s_mul_i32 s64, s4, s43
	s_add_u32 s62, s62, s64
	s_addc_u32 s23, s63, s23
	s_add_u32 s62, s62, s88
	s_mul_i32 s63, s24, 0x3d10
	s_addc_u32 s23, s23, s89
	s_add_u32 s62, s62, s63
	s_mul_hi_u32 s63, s24, 0x3d10
	s_mul_hi_u32 s64, s82, s28
	s_addc_u32 s23, s23, s63
	s_add_u32 s58, s62, s58
	s_addc_u32 s59, s23, s59
	s_mul_hi_u32 s23, s4, s42
	s_mul_i32 s62, s53, s42
	s_add_i32 s64, s64, s57
	s_add_i32 s23, s23, s62
	s_lshl_b64 s[62:63], s[24:25], 10
	s_and_b32 s57, s58, 0x3ffffff
	s_lshr_b64 s[58:59], s[58:59], 26
	s_add_u32 s24, s69, s67
	s_mul_hi_u32 s67, s87, s40
	s_mul_i32 s69, s80, s41
	s_addc_u32 s64, s67, s64
	s_mul_i32 s67, s55, s37
	s_delay_alu instid0(SALU_CYCLE_1) | instskip(SKIP_1) | instid1(SALU_CYCLE_1)
	s_add_u32 s24, s24, s67
	s_mul_hi_u32 s67, s55, s37
	s_addc_u32 s64, s64, s67
	s_mul_i32 s67, s1, s35
	s_delay_alu instid0(SALU_CYCLE_1) | instskip(SKIP_1) | instid1(SALU_CYCLE_1)
	s_add_u32 s24, s24, s67
	s_mul_hi_u32 s67, s1, s35
	;; [unrolled: 5-line block ×3, first 2 shown]
	s_addc_u32 s64, s64, s67
	s_add_u32 s84, s24, s84
	s_addc_u32 s85, s64, s85
	s_mul_hi_u32 s67, s80, s41
	s_and_b32 s24, s84, 0x3ffffff
	s_lshr_b64 s[84:85], s[84:85], 26
	s_add_u32 s68, s69, s68
	s_addc_u32 s66, s67, s66
	s_mul_i32 s67, s2, s31
	s_mul_i32 s69, s87, s29
	s_add_u32 s67, s68, s67
	s_mul_hi_u32 s68, s2, s31
	s_mul_hi_u32 s64, s81, s31
	s_addc_u32 s66, s66, s68
	s_mul_i32 s68, s3, s30
	s_delay_alu instid0(SALU_CYCLE_1) | instskip(SKIP_1) | instid1(SALU_CYCLE_1)
	s_add_u32 s67, s67, s68
	s_mul_hi_u32 s68, s3, s30
	s_addc_u32 s66, s66, s68
	s_mul_i32 s68, s4, s42
	s_delay_alu instid0(SALU_CYCLE_1)
	s_add_u32 s67, s67, s68
	s_addc_u32 s23, s66, s23
	s_add_u32 s62, s67, s62
	s_addc_u32 s23, s23, s63
	s_mul_i32 s63, s24, 0x3d10
	s_mul_hi_u32 s68, s87, s28
	s_add_u32 s62, s62, s63
	s_mul_hi_u32 s63, s24, 0x3d10
	s_delay_alu instid0(SALU_CYCLE_1)
	s_addc_u32 s23, s23, s63
	s_add_u32 s62, s62, s58
	s_addc_u32 s63, s23, s59
	s_mul_hi_u32 s23, s4, s30
	s_mul_i32 s58, s53, s30
	s_lshl_b64 s[66:67], s[24:25], 10
	s_add_i32 s23, s23, s58
	s_add_i32 s68, s68, s69
	s_and_b32 s58, s62, 0x3ffffff
	s_lshr_b64 s[62:63], s[62:63], 26
	s_mul_hi_u32 s59, s55, s40
	s_add_u32 s24, s77, s73
	s_addc_u32 s59, s59, s68
	s_mul_i32 s68, s1, s37
	s_mul_i32 s77, s80, s43
	s_add_u32 s24, s24, s68
	s_mul_hi_u32 s68, s1, s37
	s_mul_i32 s73, s81, s31
	s_addc_u32 s59, s59, s68
	s_mul_i32 s68, s18, s35
	s_delay_alu instid0(SALU_CYCLE_1) | instskip(SKIP_1) | instid1(SALU_CYCLE_1)
	s_add_u32 s24, s24, s68
	s_mul_hi_u32 s68, s18, s35
	s_addc_u32 s59, s59, s68
	s_add_u32 s68, s24, s84
	s_addc_u32 s69, s59, s85
	s_mul_hi_u32 s59, s80, s43
	s_and_b32 s24, s68, 0x3ffffff
	s_lshr_b64 s[68:69], s[68:69], 26
	s_add_u32 s75, s77, s75
	s_mul_i32 s77, s82, s41
	s_addc_u32 s59, s59, s74
	s_mul_hi_u32 s74, s82, s41
	s_add_u32 s75, s75, s77
	s_addc_u32 s59, s59, s74
	s_mul_i32 s74, s2, s34
	s_mul_i32 s77, s55, s29
	s_add_u32 s74, s75, s74
	s_mul_hi_u32 s75, s2, s34
	s_delay_alu instid0(SALU_CYCLE_1) | instskip(SKIP_1) | instid1(SALU_CYCLE_1)
	s_addc_u32 s59, s59, s75
	s_mul_i32 s75, s3, s31
	s_add_u32 s74, s74, s75
	s_mul_hi_u32 s75, s3, s31
	s_delay_alu instid0(SALU_CYCLE_1) | instskip(SKIP_1) | instid1(SALU_CYCLE_1)
	s_addc_u32 s59, s59, s75
	s_mul_i32 s75, s4, s30
	s_add_u32 s74, s74, s75
	s_addc_u32 s23, s59, s23
	s_add_u32 s59, s74, s66
	s_mul_i32 s66, s24, 0x3d10
	s_addc_u32 s23, s23, s67
	s_add_u32 s59, s59, s66
	s_mul_hi_u32 s66, s24, 0x3d10
	s_mul_hi_u32 s75, s55, s28
	s_addc_u32 s23, s23, s66
	s_add_u32 s62, s59, s62
	s_addc_u32 s63, s23, s63
	s_mul_hi_u32 s23, s4, s31
	s_mul_i32 s59, s53, s31
	s_mul_i32 s74, s1, s40
	s_add_i32 s23, s23, s59
	s_lshl_b64 s[66:67], s[24:25], 10
	s_add_i32 s75, s75, s77
	s_and_b32 s59, s62, 0x3ffffff
	s_lshr_b64 s[62:63], s[62:63], 26
	s_add_u32 s24, s74, s79
	s_mul_hi_u32 s74, s1, s40
	s_mul_i32 s79, s1, s28
	s_addc_u32 s74, s74, s75
	s_mul_i32 s75, s18, s37
	s_mul_hi_u32 s77, s81, s34
	s_add_u32 s24, s24, s75
	s_mul_hi_u32 s75, s18, s37
	s_mul_i32 s81, s81, s34
	s_addc_u32 s74, s74, s75
	s_add_u32 s68, s24, s68
	s_addc_u32 s69, s74, s69
	s_mul_i32 s75, s80, s42
	s_mul_hi_u32 s74, s80, s42
	s_and_b32 s24, s68, 0x3ffffff
	s_lshr_b64 s[68:69], s[68:69], 26
	s_add_u32 s22, s75, s22
	s_mul_i32 s75, s82, s43
	s_addc_u32 s60, s74, s60
	s_mul_hi_u32 s74, s82, s43
	s_add_u32 s22, s22, s75
	s_mul_i32 s75, s87, s41
	s_addc_u32 s60, s60, s74
	s_mul_hi_u32 s74, s87, s41
	s_add_u32 s22, s22, s75
	s_addc_u32 s60, s60, s74
	s_mul_i32 s74, s2, s35
	s_mul_i32 s75, s1, s29
	s_add_u32 s22, s22, s74
	s_mul_hi_u32 s74, s2, s35
	s_delay_alu instid0(SALU_CYCLE_1) | instskip(SKIP_1) | instid1(SALU_CYCLE_1)
	s_addc_u32 s60, s60, s74
	s_mul_i32 s74, s3, s34
	s_add_u32 s22, s22, s74
	s_mul_hi_u32 s74, s3, s34
	s_delay_alu instid0(SALU_CYCLE_1) | instskip(SKIP_1) | instid1(SALU_CYCLE_1)
	s_addc_u32 s60, s60, s74
	s_mul_i32 s74, s4, s31
	s_add_u32 s22, s22, s74
	s_addc_u32 s23, s60, s23
	s_add_u32 s22, s22, s66
	s_mul_i32 s60, s24, 0x3d10
	s_addc_u32 s23, s23, s67
	s_add_u32 s22, s22, s60
	s_mul_hi_u32 s60, s24, 0x3d10
	s_mul_hi_u32 s74, s1, s28
	s_addc_u32 s23, s23, s60
	s_add_u32 s62, s22, s62
	s_addc_u32 s63, s23, s63
	s_mul_hi_u32 s22, s4, s34
	s_mul_i32 s23, s53, s34
	s_lshl_b64 s[66:67], s[24:25], 10
	s_add_i32 s22, s22, s23
	s_add_i32 s74, s74, s75
	s_and_b32 s60, s62, 0x3ffffff
	s_lshr_b64 s[62:63], s[62:63], 26
	s_mul_hi_u32 s24, s18, s40
	s_add_u32 s23, s83, s79
	s_addc_u32 s24, s24, s74
	s_add_u32 s68, s23, s68
	s_addc_u32 s69, s24, s69
	s_mul_i32 s74, s80, s30
	s_mul_hi_u32 s23, s80, s30
	s_and_b32 s24, s68, 0x3ffffff
	s_lshr_b64 s[68:69], s[68:69], 26
	s_add_u32 s73, s74, s73
	s_mul_i32 s74, s82, s42
	s_addc_u32 s23, s23, s64
	s_mul_hi_u32 s64, s82, s42
	s_add_u32 s73, s73, s74
	s_addc_u32 s23, s23, s64
	s_mul_i32 s64, s87, s43
	s_mul_hi_u32 s74, s18, s28
	s_add_u32 s64, s73, s64
	s_mul_hi_u32 s73, s87, s43
	s_mul_i32 s53, s53, s35
	s_addc_u32 s23, s23, s73
	s_mul_i32 s73, s55, s41
	s_mul_hi_u32 s79, s80, s31
	s_add_u32 s64, s64, s73
	s_mul_hi_u32 s73, s55, s41
	s_mul_i32 s80, s80, s31
	;; [unrolled: 6-line block ×3, first 2 shown]
	s_addc_u32 s23, s23, s73
	s_mul_i32 s73, s3, s35
	s_delay_alu instid0(SALU_CYCLE_1) | instskip(SKIP_1) | instid1(SALU_CYCLE_1)
	s_add_u32 s64, s64, s73
	s_mul_hi_u32 s73, s3, s35
	s_addc_u32 s23, s23, s73
	s_mul_i32 s73, s4, s34
	s_delay_alu instid0(SALU_CYCLE_1)
	s_add_u32 s64, s64, s73
	s_addc_u32 s22, s23, s22
	s_add_u32 s64, s64, s66
	s_mul_i32 s66, s24, 0x3d10
	s_addc_u32 s22, s22, s67
	s_add_u32 s64, s64, s66
	s_mul_hi_u32 s66, s24, 0x3d10
	s_mul_i32 s23, s18, s29
	s_addc_u32 s22, s22, s66
	s_add_u32 s62, s64, s62
	s_addc_u32 s63, s22, s63
	s_mul_hi_u32 s22, s4, s35
	s_mul_i32 s18, s18, s28
	s_lshl_b64 s[66:67], s[24:25], 10
	s_add_i32 s22, s22, s53
	s_add_i32 s74, s74, s23
	s_and_b32 s23, s62, 0x3ffffff
	s_lshr_b64 s[62:63], s[62:63], 26
	s_add_u32 s68, s68, s18
	s_addc_u32 s69, s69, s74
	s_and_b32 s24, s68, 0x3ffffff
	s_lshr_b64 s[74:75], s[68:69], 26
	s_add_u32 s53, s80, s81
	s_addc_u32 s77, s79, s77
	s_mul_hi_u32 s73, s87, s42
	s_mul_i32 s87, s87, s42
	s_add_u32 s53, s53, s82
	v_alignbit_b32 v0, s69, s68, 26
	s_addc_u32 s68, s77, s83
	s_mul_hi_u32 s18, s55, s43
	s_mul_i32 s55, s55, s43
	s_add_u32 s53, s53, s87
	s_addc_u32 s68, s68, s73
	s_mul_hi_u32 s64, s1, s41
	s_mul_i32 s1, s1, s41
	s_add_u32 s53, s53, s55
	;; [unrolled: 4-line block ×4, first 2 shown]
	s_addc_u32 s2, s18, s79
	s_mul_i32 s4, s4, s35
	s_add_u32 s1, s1, s3
	s_addc_u32 s2, s2, s80
	s_add_u32 s1, s1, s4
	s_addc_u32 s2, s2, s22
	s_mul_i32 s81, s24, 0x3d10
	s_add_u32 s1, s1, s66
	s_mul_hi_u32 s77, s24, 0x3d10
	s_addc_u32 s2, s2, s67
	v_readfirstlane_b32 s73, v0
	s_add_u32 s1, s1, s81
	s_addc_u32 s3, s2, s77
	s_add_u32 s2, s1, s62
	s_addc_u32 s3, s3, s63
	s_lshr_b32 s1, s69, 26
	s_mul_hi_u32 s55, s73, 0x3d10
	s_mulk_i32 s1, 0x3d10
	s_mul_i32 s53, s73, 0x3d10
	s_lshl_b64 s[62:63], s[24:25], 10
	s_and_b32 s18, s2, 0x3ffffff
	s_lshr_b64 s[2:3], s[2:3], 26
	s_add_i32 s55, s55, s1
	s_add_u32 s1, s53, s5
	s_addc_u32 s4, s55, 0
	s_add_u32 s1, s1, s62
	s_addc_u32 s4, s4, s63
	;; [unrolled: 2-line block ×3, first 2 shown]
	s_lshl_b64 s[4:5], s[74:75], 14
	s_and_b32 s1, s2, 0x3fffff
	s_lshr_b64 s[2:3], s[2:3], 22
	s_delay_alu instid0(SALU_CYCLE_1)
	s_add_u32 s2, s2, s4
	s_addc_u32 s3, s3, s5
	s_mul_hi_u32 s4, s2, 0x3d1
	s_mul_i32 s22, s3, 0x3d1
	s_mul_i32 s5, s2, 0x3d1
	s_add_i32 s22, s4, s22
	s_add_u32 s4, s5, s17
	s_addc_u32 s5, s22, 0
	s_lshl_b64 s[2:3], s[2:3], 6
	s_and_b32 s17, s4, 0x3ffffff
	s_lshr_b64 s[4:5], s[4:5], 26
	s_add_u32 s2, s2, s54
	s_addc_u32 s3, s3, 0
	s_add_u32 s2, s2, s4
	s_addc_u32 s3, s3, s5
	s_sub_i32 s4, s19, s8
	v_alignbit_b32 v0, s3, s2, 26
	s_sub_i32 s62, s57, s48
	s_sub_i32 s63, s58, s49
	;; [unrolled: 1-line block ×3, first 2 shown]
	s_and_b32 s1, s2, 0x3ffffff
	v_readfirstlane_b32 s19, v0
	s_sub_i32 s53, s17, s78
	s_sub_i32 s64, s59, s50
	;; [unrolled: 1-line block ×3, first 2 shown]
	s_add_i32 s62, s62, 0xffffffc
	s_add_i32 s19, s19, s0
	;; [unrolled: 1-line block ×3, first 2 shown]
	s_sub_i32 s97, s70, s15
	s_sub_i32 s98, s71, s51
	;; [unrolled: 1-line block ×5, first 2 shown]
	s_add_i32 s6, s4, 0xffff0bc
	s_add_i32 s53, s53, 0xffff0bc
	;; [unrolled: 1-line block ×4, first 2 shown]
	s_lshl_b32 s17, s62, 1
	s_lshl_b32 s4, s63, 1
	s_sub_i32 s5, s26, s10
	s_sub_i32 s95, s76, s12
	;; [unrolled: 1-line block ×8, first 2 shown]
	s_add_i32 s70, s70, 0xffffefc
	s_add_i32 s71, s71, 0xffffffc
	;; [unrolled: 1-line block ×3, first 2 shown]
	s_lshl_b32 s16, s53, 1
	s_mul_i32 s24, s54, s17
	s_mul_i32 s59, s64, s4
	s_add_i32 s7, s5, 0xffffefc
	s_add_i32 s95, s95, 0xffffffc
	;; [unrolled: 1-line block ×11, first 2 shown]
	s_mul_hi_u32 s23, s54, s17
	s_mul_hi_u32 s57, s64, s4
	s_lshl_b32 s58, s70, 1
	s_lshl_b32 s19, s71, 1
	s_mul_i32 s22, s16, s66
	s_add_u32 s0, s24, s59
	s_mul_hi_u32 s18, s16, s66
	s_addc_u32 s23, s23, s57
	s_add_u32 s0, s0, s22
	s_mul_i32 s22, s58, s65
	s_addc_u32 s18, s23, s18
	s_mul_hi_u32 s23, s58, s65
	s_add_u32 s0, s0, s22
	s_mul_i32 s22, s19, s55
	s_addc_u32 s18, s18, s23
	s_mul_hi_u32 s23, s19, s55
	s_add_u32 s72, s0, s22
	s_addc_u32 s73, s18, s23
	s_mul_i32 s5, s64, s64
	s_mul_i32 s24, s54, s4
	s_mul_hi_u32 s3, s64, s64
	s_mul_hi_u32 s76, s54, s4
	s_and_b32 s18, s72, 0x3ffffff
	s_lshr_b64 s[72:73], s[72:73], 26
	s_mul_i32 s75, s55, s17
	s_add_u32 s0, s24, s5
	s_mul_hi_u32 s74, s55, s17
	s_addc_u32 s3, s76, s3
	s_add_u32 s0, s0, s75
	s_mul_i32 s24, s58, s66
	s_mul_hi_u32 s23, s58, s66
	s_addc_u32 s3, s3, s74
	s_add_u32 s0, s0, s24
	s_mul_i32 s24, s19, s65
	s_mul_hi_u32 s57, s19, s65
	s_addc_u32 s3, s3, s23
	s_add_u32 s0, s0, s24
	s_addc_u32 s3, s3, s57
	s_add_u32 s72, s0, s72
	s_addc_u32 s73, s3, s73
	s_and_b32 s24, s72, 0x3ffffff
	s_mul_i32 s2, s53, s53
	s_mul_i32 s0, s24, 0x3d10
	s_mul_hi_u32 s1, s53, s53
	s_lshr_b64 s[72:73], s[72:73], 26
	s_mul_hi_u32 s3, s24, 0x3d10
	s_add_u32 s0, s0, s2
	s_addc_u32 s1, s3, s1
	s_lshl_b32 s23, s64, 1
	s_mul_i32 s5, s55, s4
	s_lshl_b64 s[2:3], s[24:25], 10
	s_mul_i32 s24, s54, s23
	s_and_b32 s57, s0, 0x3ffffff
	s_lshr_b64 s[0:1], s[0:1], 26
	s_mul_hi_u32 s22, s55, s4
	s_add_u32 s5, s5, s24
	s_mul_hi_u32 s24, s54, s23
	s_mul_i32 s59, s65, s17
	s_addc_u32 s22, s22, s24
	s_mul_hi_u32 s24, s65, s17
	s_add_u32 s5, s5, s59
	s_addc_u32 s22, s22, s24
	s_mul_i32 s24, s19, s66
	s_mul_i32 s59, s70, s16
	s_add_u32 s5, s5, s24
	s_mul_hi_u32 s24, s19, s66
	s_mul_i32 s69, s54, s54
	s_addc_u32 s22, s22, s24
	s_add_u32 s72, s5, s72
	s_addc_u32 s73, s22, s73
	s_mul_hi_u32 s22, s70, s16
	s_and_b32 s24, s72, 0x3ffffff
	s_lshr_b64 s[72:73], s[72:73], 26
	s_add_u32 s2, s2, s59
	s_addc_u32 s3, s3, s22
	s_mul_i32 s59, s24, 0x3d10
	s_add_u32 s0, s2, s0
	s_addc_u32 s1, s3, s1
	s_mul_hi_u32 s2, s24, 0x3d10
	s_add_u32 s0, s0, s59
	s_addc_u32 s1, s1, s2
	s_mul_i32 s22, s55, s23
	s_mul_hi_u32 s67, s54, s54
	s_lshl_b64 s[2:3], s[24:25], 10
	s_and_b32 s59, s0, 0x3ffffff
	s_lshr_b64 s[0:1], s[0:1], 26
	s_mul_hi_u32 s24, s55, s23
	s_mul_i32 s5, s65, s4
	s_add_u32 s22, s22, s69
	s_addc_u32 s24, s24, s67
	s_mul_hi_u32 s67, s65, s4
	s_add_u32 s5, s22, s5
	s_mul_i32 s22, s66, s17
	s_mul_hi_u32 s74, s66, s17
	s_addc_u32 s24, s24, s67
	s_add_u32 s5, s5, s22
	s_addc_u32 s24, s24, s74
	s_add_u32 s72, s5, s72
	s_addc_u32 s73, s24, s73
	s_mul_i32 s22, s70, s70
	s_mul_i32 s69, s71, s16
	s_mul_hi_u32 s67, s70, s70
	s_mul_hi_u32 s5, s71, s16
	s_and_b32 s24, s72, 0x3ffffff
	s_lshr_b64 s[72:73], s[72:73], 26
	s_add_u32 s22, s69, s22
	s_addc_u32 s5, s5, s67
	s_mul_i32 s67, s24, 0x3d10
	s_add_u32 s2, s22, s2
	s_addc_u32 s3, s5, s3
	s_mul_hi_u32 s5, s24, 0x3d10
	s_add_u32 s2, s2, s67
	s_addc_u32 s3, s3, s5
	s_add_u32 s0, s2, s0
	s_addc_u32 s1, s3, s1
	s_lshl_b32 s22, s54, 1
	s_mul_i32 s69, s65, s23
	s_mul_i32 s5, s55, s22
	s_mul_hi_u32 s74, s65, s23
	s_lshl_b64 s[2:3], s[24:25], 10
	s_and_b32 s67, s0, 0x3ffffff
	s_lshr_b64 s[0:1], s[0:1], 26
	s_mul_hi_u32 s24, s55, s22
	s_add_u32 s5, s69, s5
	s_mul_i32 s69, s66, s4
	s_addc_u32 s24, s74, s24
	s_mul_hi_u32 s4, s66, s4
	s_add_u32 s5, s5, s69
	s_addc_u32 s24, s24, s4
	s_add_u32 s4, s5, s72
	s_addc_u32 s5, s24, s73
	s_mul_i32 s73, s16, s62
	s_mul_i32 s74, s71, s58
	s_and_b32 s24, s4, 0x3ffffff
	s_lshr_b64 s[4:5], s[4:5], 26
	s_mul_hi_u32 s72, s16, s62
	s_add_u32 s73, s74, s73
	s_mul_hi_u32 s74, s71, s58
	s_mul_i32 s68, s55, s55
	s_addc_u32 s72, s74, s72
	s_add_u32 s2, s73, s2
	s_mul_i32 s73, s24, 0x3d10
	s_addc_u32 s3, s72, s3
	s_add_u32 s2, s2, s73
	s_mul_hi_u32 s73, s24, 0x3d10
	s_mul_i32 s72, s65, s22
	s_addc_u32 s3, s3, s73
	s_add_u32 s0, s2, s0
	s_addc_u32 s1, s3, s1
	s_lshl_b64 s[2:3], s[24:25], 10
	s_and_b32 s24, s0, 0x3ffffff
	s_lshr_b64 s[0:1], s[0:1], 26
	s_mul_hi_u32 s60, s55, s55
	v_writelane_b32 v19, s24, 22
	s_add_u32 s24, s72, s68
	s_mul_hi_u32 s68, s65, s22
	s_mul_i32 s72, s71, s71
	s_addc_u32 s60, s68, s60
	s_mul_i32 s68, s66, s23
	s_mul_hi_u32 s23, s66, s23
	s_add_u32 s24, s24, s68
	s_addc_u32 s23, s60, s23
	s_add_u32 s4, s24, s4
	s_addc_u32 s5, s23, s5
	s_mul_i32 s23, s16, s63
	s_and_b32 s24, s4, 0x3ffffff
	s_lshr_b64 s[4:5], s[4:5], 26
	s_mul_hi_u32 s68, s16, s63
	s_add_u32 s23, s72, s23
	s_mul_hi_u32 s72, s71, s71
	s_mul_i32 s60, s58, s62
	s_addc_u32 s68, s72, s68
	s_mul_hi_u32 s72, s58, s62
	s_add_u32 s23, s23, s60
	s_addc_u32 s68, s68, s72
	s_mul_i32 s72, s24, 0x3d10
	s_add_u32 s2, s23, s2
	s_addc_u32 s3, s68, s3
	s_mul_hi_u32 s23, s24, 0x3d10
	s_add_u32 s2, s2, s72
	s_addc_u32 s3, s3, s23
	s_add_u32 s0, s2, s0
	s_addc_u32 s1, s3, s1
	s_lshl_b32 s23, s55, 1
	s_mul_hi_u32 s60, s66, s22
	s_mul_i32 s22, s66, s22
	s_lshl_b64 s[2:3], s[24:25], 10
	s_mul_i32 s24, s65, s23
	s_and_b32 s76, s0, 0x3ffffff
	s_lshr_b64 s[0:1], s[0:1], 26
	s_add_u32 s22, s22, s24
	s_mul_hi_u32 s24, s65, s23
	s_mul_i32 s68, s58, s63
	s_addc_u32 s24, s60, s24
	s_add_u32 s4, s22, s4
	s_addc_u32 s5, s24, s5
	s_mul_i32 s60, s16, s64
	s_and_b32 s24, s4, 0x3ffffff
	s_lshr_b64 s[4:5], s[4:5], 26
	s_mul_hi_u32 s22, s16, s64
	s_add_u32 s60, s68, s60
	s_mul_hi_u32 s68, s58, s63
	s_mul_i32 s74, s62, s62
	s_addc_u32 s22, s68, s22
	s_mul_i32 s68, s19, s62
	s_mul_hi_u32 s69, s62, s62
	s_add_u32 s60, s60, s68
	s_mul_hi_u32 s68, s19, s62
	s_mul_i32 s56, s28, s99
	s_addc_u32 s22, s22, s68
	s_add_u32 s2, s60, s2
	s_mul_i32 s60, s24, 0x3d10
	s_addc_u32 s3, s22, s3
	s_add_u32 s2, s2, s60
	s_mul_hi_u32 s60, s24, 0x3d10
	s_mul_i32 s68, s65, s65
	s_addc_u32 s3, s3, s60
	s_add_u32 s0, s2, s0
	s_addc_u32 s1, s3, s1
	s_mul_i32 s22, s66, s23
	s_lshl_b64 s[2:3], s[24:25], 10
	s_and_b32 s79, s0, 0x3ffffff
	s_lshr_b64 s[0:1], s[0:1], 26
	s_mul_hi_u32 s24, s65, s65
	s_mul_hi_u32 s23, s66, s23
	s_add_u32 s22, s22, s68
	s_addc_u32 s23, s23, s24
	s_add_u32 s4, s22, s4
	s_addc_u32 s5, s23, s5
	s_mul_i32 s60, s16, s54
	s_mul_hi_u32 s23, s16, s54
	s_and_b32 s24, s4, 0x3ffffff
	s_lshr_b64 s[4:5], s[4:5], 26
	s_add_u32 s60, s60, s74
	s_mul_i32 s68, s58, s64
	s_addc_u32 s23, s23, s69
	s_mul_hi_u32 s69, s58, s64
	s_add_u32 s60, s60, s68
	s_mul_i32 s68, s19, s63
	s_addc_u32 s23, s23, s69
	s_mul_hi_u32 s69, s19, s63
	s_add_u32 s60, s60, s68
	s_addc_u32 s23, s23, s69
	s_mul_i32 s69, s24, 0x3d10
	s_add_u32 s2, s60, s2
	s_mul_hi_u32 s68, s24, 0x3d10
	s_addc_u32 s3, s23, s3
	s_add_u32 s2, s2, s69
	s_addc_u32 s3, s3, s68
	s_add_u32 s0, s2, s0
	s_addc_u32 s1, s3, s1
	s_lshl_b32 s23, s65, 1
	s_lshl_b64 s[2:3], s[24:25], 10
	s_mul_i32 s24, s23, s66
	s_and_b32 s80, s0, 0x3ffffff
	s_lshr_b64 s[0:1], s[0:1], 26
	s_mul_hi_u32 s23, s23, s66
	s_add_u32 s4, s4, s24
	s_addc_u32 s5, s5, s23
	s_mul_i32 s60, s16, s55
	s_mul_i32 s68, s63, s17
	s_and_b32 s24, s4, 0x3ffffff
	s_lshr_b64 s[4:5], s[4:5], 26
	s_mul_hi_u32 s23, s16, s55
	s_add_u32 s60, s60, s68
	s_mul_hi_u32 s68, s63, s17
	s_mul_hi_u32 s22, s66, s66
	s_addc_u32 s23, s23, s68
	s_mul_i32 s68, s58, s54
	s_mul_i32 s33, s28, s100
	s_add_u32 s60, s60, s68
	s_mul_hi_u32 s68, s58, s54
	s_mul_i32 s26, s28, s101
	s_addc_u32 s23, s23, s68
	s_mul_i32 s68, s19, s64
	s_mul_i32 s27, s96, s31
	s_add_u32 s60, s60, s68
	s_mul_hi_u32 s68, s19, s64
	s_delay_alu instid0(SALU_CYCLE_1)
	s_addc_u32 s23, s23, s68
	s_add_u32 s2, s60, s2
	s_addc_u32 s3, s23, s3
	s_mul_i32 s23, s24, 0x3d10
	s_mul_hi_u32 s60, s24, 0x3d10
	s_add_u32 s2, s2, s23
	s_addc_u32 s3, s3, s60
	s_add_u32 s0, s2, s0
	s_addc_u32 s1, s3, s1
	s_mul_i32 s68, s66, s66
	s_lshl_b64 s[2:3], s[24:25], 10
	s_and_b32 s81, s0, 0x3ffffff
	s_lshr_b64 s[0:1], s[0:1], 26
	s_add_u32 s4, s4, s68
	s_addc_u32 s5, s5, s22
	s_mul_i32 s22, s63, s63
	s_mul_i32 s23, s64, s17
	s_and_b32 s24, s4, 0x3ffffff
	s_lshr_b64 s[68:69], s[4:5], 26
	s_add_u32 s22, s23, s22
	s_mul_hi_u32 s17, s64, s17
	s_mul_hi_u32 s23, s63, s63
	v_alignbit_b32 v0, s5, s4, 26
	s_addc_u32 s17, s17, s23
	s_mul_i32 s23, s16, s65
	s_mul_hi_u32 s16, s16, s65
	s_add_u32 s22, s22, s23
	s_addc_u32 s16, s17, s16
	s_mul_i32 s17, s58, s55
	s_mul_hi_u32 s23, s58, s55
	s_add_u32 s17, s22, s17
	;; [unrolled: 4-line block ×3, first 2 shown]
	s_addc_u32 s16, s16, s19
	s_add_u32 s2, s17, s2
	s_mul_i32 s4, s24, 0x3d10
	s_addc_u32 s3, s16, s3
	s_mul_hi_u32 s16, s24, 0x3d10
	s_add_u32 s2, s2, s4
	v_readfirstlane_b32 s4, v0
	s_addc_u32 s3, s3, s16
	s_add_u32 s0, s2, s0
	s_addc_u32 s1, s3, s1
	s_lshr_b32 s5, s5, 26
	s_mul_i32 s16, s4, 0x3d10
	s_mul_hi_u32 s4, s4, 0x3d10
	s_mulk_i32 s5, 0x3d10
	s_lshl_b64 s[2:3], s[24:25], 10
	s_and_b32 s82, s0, 0x3ffffff
	s_lshr_b64 s[0:1], s[0:1], 26
	s_add_i32 s4, s4, s5
	s_add_u32 s5, s16, s18
	s_addc_u32 s4, s4, 0
	s_add_u32 s2, s5, s2
	s_addc_u32 s3, s4, s3
	;; [unrolled: 2-line block ×3, first 2 shown]
	s_lshl_b64 s[2:3], s[68:69], 14
	s_and_b32 s84, s0, 0x3fffff
	s_lshr_b64 s[0:1], s[0:1], 22
	s_mul_i32 s19, s98, s98
	s_add_u32 s0, s0, s2
	s_addc_u32 s1, s1, s3
	s_mul_hi_u32 s2, s0, 0x3d1
	s_mul_i32 s4, s1, 0x3d1
	s_mul_i32 s3, s0, 0x3d1
	s_add_i32 s4, s2, s4
	s_add_u32 s2, s3, s57
	s_addc_u32 s3, s4, 0
	s_lshl_b64 s[0:1], s[0:1], 6
	s_and_b32 s61, s2, 0x3ffffff
	s_lshr_b64 s[2:3], s[2:3], 26
	s_add_u32 s0, s0, s59
	s_addc_u32 s1, s1, 0
	s_add_u32 s0, s0, s2
	s_addc_u32 s1, s1, s3
	s_lshl_b32 s60, s96, 1
	v_alignbit_b32 v0, s1, s0, 26
	s_lshl_b32 s68, s97, 1
	s_lshl_b32 s59, s6, 1
	s_mul_i32 s1, s99, s60
	s_mul_i32 s2, s98, s68
	v_readfirstlane_b32 s85, v0
	s_lshl_b32 s58, s7, 1
	s_lshl_b32 s57, s95, 1
	s_and_b32 s93, s0, 0x3ffffff
	s_mul_hi_u32 s0, s99, s60
	s_add_i32 s85, s85, s67
	s_mul_hi_u32 s3, s98, s68
	s_add_u32 s1, s1, s2
	s_mul_i32 s2, s59, s83
	s_addc_u32 s0, s0, s3
	s_mul_hi_u32 s3, s59, s83
	s_add_u32 s1, s1, s2
	s_mul_i32 s2, s58, s101
	s_addc_u32 s0, s0, s3
	;; [unrolled: 4-line block ×3, first 2 shown]
	s_mul_hi_u32 s4, s57, s100
	s_add_u32 s0, s1, s2
	s_addc_u32 s1, s3, s4
	s_mul_i32 s2, s99, s68
	s_mul_hi_u32 s23, s98, s98
	s_and_b32 s18, s0, 0x3ffffff
	s_lshr_b64 s[0:1], s[0:1], 26
	s_mul_hi_u32 s3, s99, s68
	s_add_u32 s2, s2, s19
	s_mul_i32 s4, s100, s60
	s_addc_u32 s3, s3, s23
	s_add_u32 s2, s2, s4
	s_mul_hi_u32 s4, s100, s60
	s_mul_hi_u32 s22, s6, s6
	s_addc_u32 s3, s3, s4
	s_mul_i32 s4, s58, s83
	s_mul_i32 s17, s100, s68
	s_add_u32 s2, s2, s4
	s_mul_hi_u32 s4, s58, s83
	s_mul_hi_u32 s67, s95, s59
	s_addc_u32 s3, s3, s4
	s_mul_i32 s4, s57, s101
	s_delay_alu instid0(SALU_CYCLE_1) | instskip(SKIP_1) | instid1(SALU_CYCLE_1)
	s_add_u32 s2, s2, s4
	s_mul_hi_u32 s4, s57, s101
	s_addc_u32 s3, s3, s4
	s_add_u32 s0, s2, s0
	s_addc_u32 s1, s3, s1
	s_and_b32 s24, s0, 0x3ffffff
	s_mul_i32 s2, s6, s6
	s_mul_i32 s3, s24, 0x3d10
	s_lshr_b64 s[0:1], s[0:1], 26
	s_mul_hi_u32 s4, s24, 0x3d10
	s_add_u32 s2, s3, s2
	s_addc_u32 s3, s4, s22
	s_lshl_b32 s22, s98, 1
	s_and_b32 s16, s2, 0x3ffffff
	s_mul_i32 s19, s99, s22
	s_lshr_b64 s[2:3], s[2:3], 26
	s_lshl_b64 s[4:5], s[24:25], 10
	s_add_u32 s17, s17, s19
	s_mul_hi_u32 s19, s100, s68
	s_mul_hi_u32 s23, s99, s22
	s_delay_alu instid0(SALU_CYCLE_1) | instskip(SKIP_1) | instid1(SALU_CYCLE_1)
	s_addc_u32 s19, s19, s23
	s_mul_i32 s23, s101, s60
	s_add_u32 s17, s17, s23
	s_mul_hi_u32 s23, s101, s60
	s_delay_alu instid0(SALU_CYCLE_1) | instskip(SKIP_1) | instid1(SALU_CYCLE_1)
	s_addc_u32 s19, s19, s23
	s_mul_i32 s23, s57, s83
	s_add_u32 s17, s17, s23
	s_mul_hi_u32 s23, s57, s83
	s_delay_alu instid0(SALU_CYCLE_1)
	s_addc_u32 s19, s19, s23
	s_add_u32 s0, s17, s0
	s_addc_u32 s1, s19, s1
	s_mul_i32 s17, s7, s59
	s_and_b32 s24, s0, 0x3ffffff
	s_lshr_b64 s[0:1], s[0:1], 26
	s_add_u32 s4, s4, s17
	s_mul_hi_u32 s17, s7, s59
	s_mul_i32 s19, s99, s99
	s_addc_u32 s5, s5, s17
	s_add_u32 s2, s4, s2
	s_mul_i32 s4, s24, 0x3d10
	s_addc_u32 s3, s5, s3
	s_add_u32 s2, s2, s4
	s_mul_hi_u32 s4, s24, 0x3d10
	s_mul_i32 s23, s100, s22
	s_addc_u32 s3, s3, s4
	s_and_b32 s17, s2, 0x3ffffff
	s_lshr_b64 s[2:3], s[2:3], 26
	s_lshl_b64 s[4:5], s[24:25], 10
	s_add_u32 s19, s23, s19
	s_mul_hi_u32 s23, s99, s99
	s_mul_hi_u32 s24, s100, s22
	s_delay_alu instid0(SALU_CYCLE_1) | instskip(SKIP_1) | instid1(SALU_CYCLE_1)
	s_addc_u32 s23, s24, s23
	s_mul_i32 s24, s101, s68
	s_add_u32 s19, s19, s24
	s_mul_hi_u32 s24, s101, s68
	s_delay_alu instid0(SALU_CYCLE_1) | instskip(SKIP_1) | instid1(SALU_CYCLE_1)
	s_addc_u32 s23, s23, s24
	s_mul_i32 s24, s83, s60
	s_add_u32 s19, s19, s24
	s_mul_hi_u32 s24, s83, s60
	s_delay_alu instid0(SALU_CYCLE_1)
	s_addc_u32 s23, s23, s24
	s_add_u32 s0, s19, s0
	s_addc_u32 s1, s23, s1
	s_mul_i32 s19, s7, s7
	s_mul_i32 s23, s95, s59
	s_and_b32 s24, s0, 0x3ffffff
	s_lshr_b64 s[0:1], s[0:1], 26
	s_add_u32 s19, s23, s19
	s_mul_hi_u32 s23, s7, s7
	s_delay_alu instid0(SALU_CYCLE_1)
	s_addc_u32 s23, s67, s23
	s_add_u32 s4, s19, s4
	s_mul_i32 s19, s24, 0x3d10
	s_addc_u32 s5, s23, s5
	s_add_u32 s4, s4, s19
	s_mul_hi_u32 s19, s24, 0x3d10
	s_mul_i32 s23, s101, s22
	s_addc_u32 s5, s5, s19
	s_add_u32 s2, s4, s2
	s_addc_u32 s3, s5, s3
	s_lshl_b32 s67, s99, 1
	s_and_b32 s19, s2, 0x3ffffff
	s_mul_i32 s69, s100, s67
	s_lshr_b64 s[2:3], s[2:3], 26
	s_lshl_b64 s[4:5], s[24:25], 10
	s_add_u32 s23, s23, s69
	s_mul_hi_u32 s24, s101, s22
	s_mul_hi_u32 s69, s100, s67
	s_delay_alu instid0(SALU_CYCLE_1)
	s_addc_u32 s24, s24, s69
	s_mul_i32 s69, s83, s68
	s_mul_hi_u32 s68, s83, s68
	s_add_u32 s23, s23, s69
	s_addc_u32 s24, s24, s68
	s_add_u32 s0, s23, s0
	s_addc_u32 s1, s24, s1
	s_mul_i32 s23, s59, s96
	s_mul_i32 s68, s95, s58
	s_and_b32 s24, s0, 0x3ffffff
	s_lshr_b64 s[0:1], s[0:1], 26
	s_add_u32 s23, s68, s23
	s_mul_hi_u32 s68, s59, s96
	s_mul_hi_u32 s69, s95, s58
	s_delay_alu instid0(SALU_CYCLE_1)
	s_addc_u32 s68, s69, s68
	s_add_u32 s4, s23, s4
	s_mul_i32 s23, s24, 0x3d10
	s_addc_u32 s5, s68, s5
	s_add_u32 s4, s4, s23
	s_mul_hi_u32 s23, s24, 0x3d10
	s_mul_i32 s68, s101, s67
	s_addc_u32 s5, s5, s23
	s_add_u32 s2, s4, s2
	s_addc_u32 s3, s5, s3
	s_mul_i32 s23, s100, s100
	s_and_b32 s102, s2, 0x3ffffff
	s_lshr_b64 s[2:3], s[2:3], 26
	s_lshl_b64 s[4:5], s[24:25], 10
	s_add_u32 s23, s68, s23
	s_mul_hi_u32 s24, s100, s100
	s_mul_hi_u32 s68, s101, s67
	s_delay_alu instid0(SALU_CYCLE_1)
	s_addc_u32 s24, s68, s24
	s_mul_i32 s68, s83, s22
	s_mul_hi_u32 s22, s83, s22
	s_add_u32 s23, s23, s68
	s_addc_u32 s22, s24, s22
	s_add_u32 s0, s23, s0
	s_addc_u32 s1, s22, s1
	s_mul_i32 s22, s95, s95
	s_mul_i32 s23, s59, s97
	s_and_b32 s24, s0, 0x3ffffff
	s_lshr_b64 s[0:1], s[0:1], 26
	s_add_u32 s22, s22, s23
	s_mul_hi_u32 s23, s95, s95
	s_mul_hi_u32 s68, s59, s97
	s_delay_alu instid0(SALU_CYCLE_1) | instskip(SKIP_1) | instid1(SALU_CYCLE_1)
	s_addc_u32 s23, s23, s68
	s_mul_i32 s68, s58, s96
	s_add_u32 s22, s22, s68
	s_mul_hi_u32 s68, s58, s96
	s_delay_alu instid0(SALU_CYCLE_1)
	s_addc_u32 s23, s23, s68
	s_add_u32 s4, s22, s4
	s_mul_i32 s22, s24, 0x3d10
	s_addc_u32 s5, s23, s5
	s_add_u32 s4, s4, s22
	s_mul_hi_u32 s22, s24, 0x3d10
	s_delay_alu instid0(SALU_CYCLE_1)
	s_addc_u32 s5, s5, s22
	s_add_u32 s2, s4, s2
	s_addc_u32 s3, s5, s3
	s_lshl_b32 s23, s100, 1
	s_mul_i32 s22, s83, s67
	s_mul_i32 s68, s101, s23
	s_and_b32 s103, s2, 0x3ffffff
	s_lshr_b64 s[2:3], s[2:3], 26
	s_lshl_b64 s[4:5], s[24:25], 10
	s_mul_hi_u32 s24, s83, s67
	s_mul_hi_u32 s67, s101, s23
	s_add_u32 s22, s22, s68
	s_addc_u32 s24, s24, s67
	s_add_u32 s0, s22, s0
	s_addc_u32 s1, s24, s1
	s_mul_i32 s22, s59, s98
	s_mul_i32 s67, s58, s97
	s_and_b32 s24, s0, 0x3ffffff
	s_lshr_b64 s[0:1], s[0:1], 26
	s_add_u32 s22, s67, s22
	s_mul_hi_u32 s67, s59, s98
	s_mul_hi_u32 s68, s58, s97
	s_delay_alu instid0(SALU_CYCLE_1) | instskip(SKIP_1) | instid1(SALU_CYCLE_1)
	s_addc_u32 s67, s68, s67
	s_mul_i32 s68, s57, s96
	s_add_u32 s22, s22, s68
	s_mul_hi_u32 s68, s57, s96
	s_delay_alu instid0(SALU_CYCLE_1)
	s_addc_u32 s67, s67, s68
	s_add_u32 s4, s22, s4
	s_mul_i32 s22, s24, 0x3d10
	s_addc_u32 s5, s67, s5
	s_add_u32 s4, s4, s22
	s_mul_hi_u32 s22, s24, 0x3d10
	s_mul_i32 s67, s83, s23
	s_addc_u32 s5, s5, s22
	s_add_u32 s2, s4, s2
	s_addc_u32 s3, s5, s3
	s_mul_i32 s22, s101, s101
	s_and_b32 s104, s2, 0x3ffffff
	s_lshr_b64 s[2:3], s[2:3], 26
	s_lshl_b64 s[4:5], s[24:25], 10
	s_mul_hi_u32 s23, s83, s23
	s_mul_hi_u32 s24, s101, s101
	s_add_u32 s22, s67, s22
	s_addc_u32 s23, s23, s24
	s_add_u32 s0, s22, s0
	s_addc_u32 s1, s23, s1
	s_mul_i32 s22, s96, s96
	s_mul_i32 s23, s59, s99
	s_and_b32 s24, s0, 0x3ffffff
	s_lshr_b64 s[0:1], s[0:1], 26
	s_add_u32 s22, s23, s22
	s_mul_hi_u32 s23, s96, s96
	s_mul_hi_u32 s67, s59, s99
	s_delay_alu instid0(SALU_CYCLE_1) | instskip(SKIP_1) | instid1(SALU_CYCLE_1)
	s_addc_u32 s23, s67, s23
	s_mul_i32 s67, s58, s98
	s_add_u32 s22, s22, s67
	s_mul_hi_u32 s67, s58, s98
	s_delay_alu instid0(SALU_CYCLE_1) | instskip(SKIP_1) | instid1(SALU_CYCLE_1)
	s_addc_u32 s23, s23, s67
	s_mul_i32 s67, s57, s97
	s_add_u32 s22, s22, s67
	s_mul_hi_u32 s67, s57, s97
	s_delay_alu instid0(SALU_CYCLE_1)
	s_addc_u32 s23, s23, s67
	s_add_u32 s4, s22, s4
	s_mul_i32 s22, s24, 0x3d10
	s_addc_u32 s5, s23, s5
	s_add_u32 s4, s4, s22
	s_mul_hi_u32 s22, s24, 0x3d10
	s_mul_hi_u32 s67, s97, s60
	s_addc_u32 s5, s5, s22
	s_add_u32 s2, s4, s2
	s_addc_u32 s3, s5, s3
	s_lshl_b32 s4, s101, 1
	s_and_b32 vcc_lo, s2, 0x3ffffff
	s_mul_i32 s23, s4, s83
	s_lshr_b64 s[2:3], s[2:3], 26
	s_mul_hi_u32 s22, s4, s83
	s_lshl_b64 s[4:5], s[24:25], 10
	s_add_u32 s0, s0, s23
	s_addc_u32 s1, s1, s22
	s_mul_i32 s22, s59, s100
	s_mul_i32 s23, s97, s60
	s_and_b32 s24, s0, 0x3ffffff
	s_lshr_b64 s[0:1], s[0:1], 26
	s_add_u32 s22, s22, s23
	s_mul_hi_u32 s23, s59, s100
	s_delay_alu instid0(SALU_CYCLE_1) | instskip(SKIP_1) | instid1(SALU_CYCLE_1)
	s_addc_u32 s23, s23, s67
	s_mul_i32 s67, s58, s99
	s_add_u32 s22, s22, s67
	s_mul_hi_u32 s67, s58, s99
	s_delay_alu instid0(SALU_CYCLE_1) | instskip(SKIP_1) | instid1(SALU_CYCLE_1)
	s_addc_u32 s23, s23, s67
	s_mul_i32 s67, s57, s98
	s_add_u32 s22, s22, s67
	s_mul_hi_u32 s67, s57, s98
	s_delay_alu instid0(SALU_CYCLE_1)
	s_addc_u32 s23, s23, s67
	s_add_u32 s4, s22, s4
	s_mul_i32 s22, s24, 0x3d10
	s_addc_u32 s5, s23, s5
	s_add_u32 s4, s4, s22
	s_mul_hi_u32 s22, s24, 0x3d10
	s_mul_i32 s23, s98, s60
	s_addc_u32 s5, s5, s22
	s_add_u32 s2, s4, s2
	s_addc_u32 s3, s5, s3
	s_and_b32 vcc_hi, s2, 0x3ffffff
	s_lshr_b64 s[4:5], s[2:3], 26
	s_mul_i32 s2, s83, s83
	s_mul_hi_u32 s3, s83, s83
	s_lshl_b64 s[68:69], s[24:25], 10
	s_add_u32 s2, s0, s2
	s_addc_u32 s3, s1, s3
	s_mul_i32 s22, s97, s97
	s_and_b32 s24, s2, 0x3ffffff
	s_lshr_b64 s[0:1], s[2:3], 26
	s_add_u32 s22, s23, s22
	s_mul_hi_u32 s23, s98, s60
	s_mul_hi_u32 s60, s97, s97
	v_alignbit_b32 v0, s3, s2, 26
	s_addc_u32 s23, s23, s60
	s_mul_i32 s60, s59, s101
	s_mul_hi_u32 s59, s59, s101
	s_add_u32 s22, s22, s60
	s_addc_u32 s23, s23, s59
	s_mul_i32 s59, s58, s100
	s_mul_hi_u32 s58, s58, s100
	s_add_u32 s22, s22, s59
	;; [unrolled: 4-line block ×3, first 2 shown]
	s_addc_u32 s23, s23, s57
	s_add_u32 s22, s22, s68
	s_mul_i32 s57, s24, 0x3d10
	s_addc_u32 s23, s23, s69
	s_add_u32 s22, s22, s57
	s_mul_hi_u32 s57, s24, 0x3d10
	s_delay_alu instid0(SALU_CYCLE_1)
	s_addc_u32 s23, s23, s57
	s_add_u32 s58, s22, s4
	s_addc_u32 s59, s23, s5
	s_lshr_b32 s2, s3, 26
	v_readfirstlane_b32 s3, v0
	s_mulk_i32 s2, 0x3d10
	s_mul_i32 s23, s103, s99
	s_mul_i32 s57, s103, s100
	s_delay_alu instid0(VALU_DEP_1)
	s_mul_hi_u32 s4, s3, 0x3d10
	s_mul_i32 s22, s3, 0x3d10
	s_add_i32 s5, s4, s2
	s_and_b32 s4, s58, 0x3ffffff
	s_lshr_b64 s[2:3], s[58:59], 26
	s_lshl_b64 s[58:59], s[24:25], 10
	s_add_u32 s18, s22, s18
	s_addc_u32 s5, s5, 0
	s_add_u32 s18, s18, s58
	s_addc_u32 s5, s5, s59
	;; [unrolled: 2-line block ×3, first 2 shown]
	s_lshl_b64 s[0:1], s[0:1], 14
	s_and_b32 s5, s2, 0x3fffff
	s_lshr_b64 s[2:3], s[2:3], 22
	s_mul_i32 s22, s102, s100
	s_add_u32 s0, s2, s0
	s_addc_u32 s1, s3, s1
	s_mul_hi_u32 s2, s0, 0x3d1
	s_mul_i32 s3, s1, 0x3d1
	s_mul_hi_u32 s24, s103, s99
	s_add_i32 s3, s2, s3
	s_mul_i32 s2, s0, 0x3d1
	s_delay_alu instid0(SALU_CYCLE_1)
	s_add_u32 s2, s2, s16
	s_addc_u32 s3, s3, 0
	s_lshl_b64 s[0:1], s[0:1], 6
	s_and_b32 s16, s2, 0x3ffffff
	s_lshr_b64 s[2:3], s[2:3], 26
	s_add_u32 s0, s0, s17
	s_addc_u32 s1, s1, 0
	s_add_u32 s0, s0, s2
	s_addc_u32 s1, s1, s3
	s_and_b32 s17, s0, 0x3ffffff
	s_lshr_b64 s[0:1], s[0:1], 26
	s_mul_i32 s2, s103, s98
	s_add_u32 s18, s0, s19
	s_addc_u32 s19, s1, 0
	s_mul_hi_u32 s0, s18, s100
	s_mul_i32 s1, s19, s100
	s_mul_hi_u32 s3, s103, s98
	s_add_i32 s0, s0, s1
	s_mul_i32 s1, s102, s99
	s_mul_hi_u32 s60, s16, s96
	s_add_u32 s1, s2, s1
	s_mul_hi_u32 s2, s102, s99
	s_delay_alu instid0(SALU_CYCLE_1) | instskip(SKIP_1) | instid1(SALU_CYCLE_1)
	s_addc_u32 s2, s3, s2
	s_mul_i32 s3, s104, s97
	s_add_u32 s1, s1, s3
	s_mul_hi_u32 s3, s104, s97
	s_delay_alu instid0(SALU_CYCLE_1) | instskip(SKIP_1) | instid1(SALU_CYCLE_1)
	s_addc_u32 s2, s2, s3
	s_mul_i32 s3, vcc_lo, s96
	s_add_u32 s1, s1, s3
	s_mul_hi_u32 s3, vcc_lo, s96
	s_delay_alu instid0(SALU_CYCLE_1) | instskip(SKIP_1) | instid1(SALU_CYCLE_1)
	s_addc_u32 s2, s2, s3
	s_mul_i32 s3, vcc_hi, s95
	s_add_u32 s1, s1, s3
	s_mul_hi_u32 s3, vcc_hi, s95
	s_delay_alu instid0(SALU_CYCLE_1) | instskip(SKIP_1) | instid1(SALU_CYCLE_1)
	s_addc_u32 s2, s2, s3
	s_mul_i32 s3, s4, s7
	s_add_u32 s1, s1, s3
	s_mul_hi_u32 s3, s4, s7
	s_delay_alu instid0(SALU_CYCLE_1) | instskip(SKIP_1) | instid1(SALU_CYCLE_1)
	s_addc_u32 s2, s2, s3
	s_mul_i32 s3, s5, s6
	s_add_u32 s1, s1, s3
	s_mul_hi_u32 s3, s5, s6
	;; [unrolled: 5-line block ×4, first 2 shown]
	s_delay_alu instid0(SALU_CYCLE_1) | instskip(SKIP_1) | instid1(SALU_CYCLE_1)
	s_addc_u32 s3, s2, s3
	s_mul_i32 s2, s18, s100
	s_add_u32 s2, s1, s2
	s_addc_u32 s3, s3, s0
	s_mul_hi_u32 s0, s18, s101
	s_mul_i32 s1, s19, s101
	s_delay_alu instid0(SALU_CYCLE_1) | instskip(SKIP_4) | instid1(SALU_CYCLE_1)
	s_add_i32 s1, s0, s1
	s_and_b32 s0, s2, 0x3ffffff
	s_lshr_b64 s[2:3], s[2:3], 26
	s_add_u32 s22, s23, s22
	s_mul_hi_u32 s23, s102, s100
	s_addc_u32 s23, s24, s23
	s_mul_i32 s24, s104, s98
	s_delay_alu instid0(SALU_CYCLE_1) | instskip(SKIP_1) | instid1(SALU_CYCLE_1)
	s_add_u32 s22, s22, s24
	s_mul_hi_u32 s24, s104, s98
	s_addc_u32 s23, s23, s24
	s_mul_i32 s24, vcc_lo, s97
	s_delay_alu instid0(SALU_CYCLE_1) | instskip(SKIP_1) | instid1(SALU_CYCLE_1)
	s_add_u32 s22, s22, s24
	s_mul_hi_u32 s24, vcc_lo, s97
	s_addc_u32 s23, s23, s24
	s_mul_i32 s24, vcc_hi, s96
	s_delay_alu instid0(SALU_CYCLE_1) | instskip(SKIP_1) | instid1(SALU_CYCLE_1)
	s_add_u32 s22, s22, s24
	s_mul_hi_u32 s24, vcc_hi, s96
	s_addc_u32 s23, s23, s24
	s_mul_i32 s24, s4, s95
	s_delay_alu instid0(SALU_CYCLE_1) | instskip(SKIP_1) | instid1(SALU_CYCLE_1)
	s_add_u32 s22, s22, s24
	s_mul_hi_u32 s24, s4, s95
	s_addc_u32 s23, s23, s24
	s_mul_i32 s24, s5, s7
	s_delay_alu instid0(SALU_CYCLE_1) | instskip(SKIP_1) | instid1(SALU_CYCLE_1)
	s_add_u32 s22, s22, s24
	s_mul_hi_u32 s24, s5, s7
	;; [unrolled: 5-line block ×3, first 2 shown]
	s_addc_u32 s23, s23, s24
	s_mul_i32 s24, s18, s101
	s_delay_alu instid0(SALU_CYCLE_1)
	s_add_u32 s22, s22, s24
	s_addc_u32 s1, s23, s1
	s_add_u32 s2, s22, s2
	s_addc_u32 s3, s1, s3
	s_and_b32 s24, s2, 0x3ffffff
	s_mul_i32 s1, s16, s6
	s_mul_i32 s22, s24, 0x3d10
	s_lshr_b64 s[2:3], s[2:3], 26
	s_add_u32 s58, s22, s1
	s_mul_hi_u32 s1, s16, s6
	s_mul_hi_u32 s22, s24, 0x3d10
	s_mul_i32 s23, s102, s101
	s_addc_u32 s59, s22, s1
	s_mul_hi_u32 s1, s18, s83
	s_mul_i32 s22, s19, s83
	s_lshl_b64 s[68:69], s[24:25], 10
	s_add_i32 s22, s1, s22
	s_and_b32 s1, s58, 0x3ffffff
	s_lshr_b64 s[58:59], s[58:59], 26
	s_add_u32 s23, s57, s23
	s_mul_hi_u32 s24, s102, s101
	s_mul_hi_u32 s57, s103, s100
	s_delay_alu instid0(SALU_CYCLE_1) | instskip(SKIP_1) | instid1(SALU_CYCLE_1)
	s_addc_u32 s24, s57, s24
	s_mul_i32 s57, s104, s99
	s_add_u32 s23, s23, s57
	s_mul_hi_u32 s57, s104, s99
	s_delay_alu instid0(SALU_CYCLE_1) | instskip(SKIP_1) | instid1(SALU_CYCLE_1)
	s_addc_u32 s24, s24, s57
	s_mul_i32 s57, vcc_lo, s98
	s_add_u32 s23, s23, s57
	s_mul_hi_u32 s57, vcc_lo, s98
	s_delay_alu instid0(SALU_CYCLE_1) | instskip(SKIP_1) | instid1(SALU_CYCLE_1)
	s_addc_u32 s24, s24, s57
	s_mul_i32 s57, vcc_hi, s97
	s_add_u32 s23, s23, s57
	s_mul_hi_u32 s57, vcc_hi, s97
	s_delay_alu instid0(SALU_CYCLE_1) | instskip(SKIP_1) | instid1(SALU_CYCLE_1)
	s_addc_u32 s24, s24, s57
	s_mul_i32 s57, s4, s96
	s_add_u32 s23, s23, s57
	s_mul_hi_u32 s57, s4, s96
	s_delay_alu instid0(SALU_CYCLE_1) | instskip(SKIP_1) | instid1(SALU_CYCLE_1)
	s_addc_u32 s24, s24, s57
	s_mul_i32 s57, s5, s95
	s_add_u32 s23, s23, s57
	s_mul_hi_u32 s57, s5, s95
	s_delay_alu instid0(SALU_CYCLE_1) | instskip(SKIP_1) | instid1(SALU_CYCLE_1)
	s_addc_u32 s24, s24, s57
	s_mul_i32 s57, s18, s83
	s_add_u32 s23, s23, s57
	s_addc_u32 s22, s24, s22
	s_add_u32 s2, s23, s2
	s_addc_u32 s3, s22, s3
	s_and_b32 s24, s2, 0x3ffffff
	s_lshr_b64 s[72:73], s[2:3], 26
	s_mul_i32 s2, s16, s7
	s_mul_i32 s3, s17, s6
	s_mul_hi_u32 s22, s17, s6
	s_add_u32 s2, s3, s2
	s_mul_hi_u32 s3, s16, s7
	s_mul_i32 s23, s103, s101
	s_addc_u32 s3, s22, s3
	s_add_u32 s2, s2, s68
	s_addc_u32 s3, s3, s69
	s_add_u32 s2, s2, s58
	s_mul_i32 s22, s24, 0x3d10
	s_addc_u32 s3, s3, s59
	s_add_u32 s58, s2, s22
	s_mul_hi_u32 s2, s24, 0x3d10
	s_mul_i32 s22, s102, s83
	s_addc_u32 s59, s3, s2
	s_mul_hi_u32 s2, s18, s6
	s_mul_i32 s3, s19, s6
	s_lshl_b64 s[68:69], s[24:25], 10
	s_add_i32 s3, s2, s3
	s_and_b32 s2, s58, 0x3ffffff
	s_lshr_b64 s[58:59], s[58:59], 26
	s_add_u32 s22, s23, s22
	s_mul_hi_u32 s23, s102, s83
	s_mul_hi_u32 s24, s103, s101
	;; [unrolled: 1-line block ×3, first 2 shown]
	s_addc_u32 s23, s24, s23
	s_mul_i32 s24, s104, s100
	s_delay_alu instid0(SALU_CYCLE_1) | instskip(SKIP_1) | instid1(SALU_CYCLE_1)
	s_add_u32 s22, s22, s24
	s_mul_hi_u32 s24, s104, s100
	s_addc_u32 s23, s23, s24
	s_mul_i32 s24, vcc_lo, s99
	s_delay_alu instid0(SALU_CYCLE_1) | instskip(SKIP_1) | instid1(SALU_CYCLE_1)
	s_add_u32 s22, s22, s24
	s_mul_hi_u32 s24, vcc_lo, s99
	s_addc_u32 s23, s23, s24
	s_mul_i32 s24, vcc_hi, s98
	s_delay_alu instid0(SALU_CYCLE_1) | instskip(SKIP_1) | instid1(SALU_CYCLE_1)
	s_add_u32 s22, s22, s24
	s_mul_hi_u32 s24, vcc_hi, s98
	s_addc_u32 s23, s23, s24
	s_mul_i32 s24, s4, s97
	s_delay_alu instid0(SALU_CYCLE_1) | instskip(SKIP_1) | instid1(SALU_CYCLE_1)
	s_add_u32 s22, s22, s24
	s_mul_hi_u32 s24, s4, s97
	s_addc_u32 s23, s23, s24
	s_mul_i32 s24, s5, s96
	s_delay_alu instid0(SALU_CYCLE_1) | instskip(SKIP_1) | instid1(SALU_CYCLE_1)
	s_add_u32 s22, s22, s24
	s_mul_hi_u32 s24, s5, s96
	s_addc_u32 s23, s23, s24
	s_add_u32 s72, s22, s72
	s_addc_u32 s73, s23, s73
	s_mul_i32 s22, s16, s95
	s_mul_i32 s23, s17, s7
	s_and_b32 s24, s72, 0x3ffffff
	s_lshr_b64 s[72:73], s[72:73], 26
	s_add_u32 s22, s23, s22
	s_mul_hi_u32 s23, s16, s95
	s_delay_alu instid0(SALU_CYCLE_1) | instskip(SKIP_1) | instid1(SALU_CYCLE_1)
	s_addc_u32 s23, s57, s23
	s_mul_i32 s57, s18, s6
	s_add_u32 s22, s22, s57
	s_addc_u32 s3, s23, s3
	s_add_u32 s22, s22, s68
	s_mul_i32 s23, s24, 0x3d10
	s_addc_u32 s3, s3, s69
	s_add_u32 s22, s22, s23
	s_mul_hi_u32 s23, s24, 0x3d10
	s_mul_i32 s57, s104, s101
	s_addc_u32 s3, s3, s23
	s_add_u32 s58, s22, s58
	s_addc_u32 s59, s3, s59
	s_mul_hi_u32 s3, s18, s7
	s_mul_i32 s22, s19, s7
	s_mul_i32 s23, s103, s83
	s_add_i32 s22, s3, s22
	s_and_b32 s3, s58, 0x3ffffff
	s_lshr_b64 s[58:59], s[58:59], 26
	s_lshl_b64 s[68:69], s[24:25], 10
	s_add_u32 s23, s57, s23
	s_mul_hi_u32 s24, s103, s83
	s_mul_hi_u32 s57, s104, s101
	s_delay_alu instid0(SALU_CYCLE_1) | instskip(SKIP_1) | instid1(SALU_CYCLE_1)
	s_addc_u32 s24, s57, s24
	s_mul_i32 s57, vcc_lo, s100
	s_add_u32 s23, s23, s57
	s_mul_hi_u32 s57, vcc_lo, s100
	s_delay_alu instid0(SALU_CYCLE_1) | instskip(SKIP_1) | instid1(SALU_CYCLE_1)
	s_addc_u32 s24, s24, s57
	s_mul_i32 s57, vcc_hi, s99
	s_add_u32 s23, s23, s57
	s_mul_hi_u32 s57, vcc_hi, s99
	s_delay_alu instid0(SALU_CYCLE_1) | instskip(SKIP_1) | instid1(SALU_CYCLE_1)
	s_addc_u32 s24, s24, s57
	s_mul_i32 s57, s4, s98
	s_add_u32 s23, s23, s57
	s_mul_hi_u32 s57, s4, s98
	s_delay_alu instid0(SALU_CYCLE_1) | instskip(SKIP_1) | instid1(SALU_CYCLE_1)
	s_addc_u32 s24, s24, s57
	s_mul_i32 s57, s5, s97
	s_add_u32 s23, s23, s57
	s_mul_hi_u32 s57, s5, s97
	s_delay_alu instid0(SALU_CYCLE_1)
	s_addc_u32 s24, s24, s57
	s_add_u32 s72, s23, s72
	s_addc_u32 s73, s24, s73
	s_mul_i32 s23, s102, s6
	s_mul_i32 s57, s16, s96
	s_and_b32 s24, s72, 0x3ffffff
	s_lshr_b64 s[72:73], s[72:73], 26
	s_add_u32 s23, s57, s23
	s_mul_hi_u32 s57, s102, s6
	s_delay_alu instid0(SALU_CYCLE_1) | instskip(SKIP_1) | instid1(SALU_CYCLE_1)
	s_addc_u32 s57, s60, s57
	s_mul_i32 s60, s17, s95
	s_add_u32 s23, s23, s60
	s_mul_hi_u32 s60, s17, s95
	s_delay_alu instid0(SALU_CYCLE_1) | instskip(SKIP_1) | instid1(SALU_CYCLE_1)
	s_addc_u32 s57, s57, s60
	s_mul_i32 s60, s18, s7
	s_add_u32 s23, s23, s60
	s_addc_u32 s22, s57, s22
	s_add_u32 s23, s23, s68
	s_mul_i32 s57, s24, 0x3d10
	s_addc_u32 s22, s22, s69
	s_add_u32 s23, s23, s57
	s_mul_hi_u32 s57, s24, 0x3d10
	s_mul_hi_u32 s60, s103, s6
	s_addc_u32 s22, s22, s57
	s_add_u32 s58, s23, s58
	s_addc_u32 s59, s22, s59
	s_mul_hi_u32 s22, s18, s95
	s_mul_i32 s23, s19, s95
	s_mul_i32 s57, vcc_lo, s101
	s_add_i32 s22, s22, s23
	s_mul_i32 s23, s104, s83
	s_and_b32 s67, s58, 0x3ffffff
	s_lshr_b64 s[58:59], s[58:59], 26
	s_lshl_b64 s[68:69], s[24:25], 10
	s_add_u32 s23, s57, s23
	s_mul_hi_u32 s24, s104, s83
	s_mul_hi_u32 s57, vcc_lo, s101
	s_delay_alu instid0(SALU_CYCLE_1) | instskip(SKIP_1) | instid1(SALU_CYCLE_1)
	s_addc_u32 s24, s57, s24
	s_mul_i32 s57, vcc_hi, s100
	s_add_u32 s23, s23, s57
	s_mul_hi_u32 s57, vcc_hi, s100
	s_delay_alu instid0(SALU_CYCLE_1) | instskip(SKIP_1) | instid1(SALU_CYCLE_1)
	s_addc_u32 s24, s24, s57
	s_mul_i32 s57, s4, s99
	s_add_u32 s23, s23, s57
	s_mul_hi_u32 s57, s4, s99
	s_delay_alu instid0(SALU_CYCLE_1) | instskip(SKIP_1) | instid1(SALU_CYCLE_1)
	s_addc_u32 s24, s24, s57
	s_mul_i32 s57, s5, s98
	s_add_u32 s23, s23, s57
	s_mul_hi_u32 s57, s5, s98
	s_delay_alu instid0(SALU_CYCLE_1)
	s_addc_u32 s24, s24, s57
	s_add_u32 s72, s23, s72
	s_addc_u32 s73, s24, s73
	s_mul_i32 s23, s102, s7
	s_mul_i32 s57, s103, s6
	s_and_b32 s24, s72, 0x3ffffff
	s_lshr_b64 s[72:73], s[72:73], 26
	s_add_u32 s23, s57, s23
	s_mul_hi_u32 s57, s102, s7
	s_delay_alu instid0(SALU_CYCLE_1) | instskip(SKIP_1) | instid1(SALU_CYCLE_1)
	s_addc_u32 s57, s60, s57
	s_mul_i32 s60, s16, s97
	s_add_u32 s23, s23, s60
	s_mul_hi_u32 s60, s16, s97
	s_delay_alu instid0(SALU_CYCLE_1) | instskip(SKIP_1) | instid1(SALU_CYCLE_1)
	s_addc_u32 s57, s57, s60
	s_mul_i32 s60, s17, s96
	;; [unrolled: 5-line block ×3, first 2 shown]
	s_add_u32 s23, s23, s60
	s_addc_u32 s22, s57, s22
	s_add_u32 s23, s23, s68
	s_mul_i32 s57, s24, 0x3d10
	s_addc_u32 s22, s22, s69
	s_add_u32 s23, s23, s57
	s_mul_hi_u32 s57, s24, 0x3d10
	s_mul_hi_u32 s60, s103, s7
	s_addc_u32 s22, s22, s57
	s_add_u32 s58, s23, s58
	s_addc_u32 s59, s22, s59
	s_mul_hi_u32 s22, s18, s96
	s_mul_i32 s23, s19, s96
	s_mul_i32 s57, vcc_hi, s101
	s_add_i32 s22, s22, s23
	s_mul_i32 s23, vcc_lo, s83
	s_and_b32 s68, s58, 0x3ffffff
	s_lshr_b64 s[58:59], s[58:59], 26
	s_lshl_b64 s[74:75], s[24:25], 10
	s_add_u32 s23, s57, s23
	s_mul_hi_u32 s24, vcc_lo, s83
	s_mul_hi_u32 s57, vcc_hi, s101
	s_delay_alu instid0(SALU_CYCLE_1) | instskip(SKIP_1) | instid1(SALU_CYCLE_1)
	s_addc_u32 s24, s57, s24
	s_mul_i32 s57, s4, s100
	s_add_u32 s23, s23, s57
	s_mul_hi_u32 s57, s4, s100
	s_delay_alu instid0(SALU_CYCLE_1) | instskip(SKIP_1) | instid1(SALU_CYCLE_1)
	s_addc_u32 s24, s24, s57
	s_mul_i32 s57, s5, s99
	s_add_u32 s23, s23, s57
	s_mul_hi_u32 s57, s5, s99
	s_delay_alu instid0(SALU_CYCLE_1)
	s_addc_u32 s24, s24, s57
	s_add_u32 s72, s23, s72
	s_addc_u32 s73, s24, s73
	s_mul_i32 s23, s102, s95
	s_mul_i32 s57, s103, s7
	s_and_b32 s24, s72, 0x3ffffff
	s_lshr_b64 s[72:73], s[72:73], 26
	s_add_u32 s23, s57, s23
	s_mul_hi_u32 s57, s102, s95
	s_delay_alu instid0(SALU_CYCLE_1) | instskip(SKIP_1) | instid1(SALU_CYCLE_1)
	s_addc_u32 s57, s60, s57
	s_mul_i32 s60, s104, s6
	s_add_u32 s23, s23, s60
	s_mul_hi_u32 s60, s104, s6
	s_delay_alu instid0(SALU_CYCLE_1) | instskip(SKIP_1) | instid1(SALU_CYCLE_1)
	s_addc_u32 s57, s57, s60
	s_mul_i32 s60, s16, s98
	;; [unrolled: 5-line block ×4, first 2 shown]
	s_add_u32 s23, s23, s60
	s_addc_u32 s22, s57, s22
	s_add_u32 s23, s23, s74
	s_mul_i32 s57, s24, 0x3d10
	s_addc_u32 s22, s22, s75
	s_add_u32 s23, s23, s57
	s_mul_hi_u32 s57, s24, 0x3d10
	s_mul_hi_u32 s60, s103, s95
	s_addc_u32 s22, s22, s57
	s_add_u32 s58, s23, s58
	s_addc_u32 s59, s22, s59
	s_mul_hi_u32 s22, s18, s97
	s_mul_i32 s23, s19, s97
	s_mul_i32 s57, s4, s101
	s_add_i32 s22, s22, s23
	s_mul_i32 s23, vcc_hi, s83
	s_and_b32 s69, s58, 0x3ffffff
	s_lshr_b64 s[58:59], s[58:59], 26
	s_lshl_b64 s[74:75], s[24:25], 10
	s_add_u32 s23, s57, s23
	s_mul_hi_u32 s24, vcc_hi, s83
	s_mul_hi_u32 s57, s4, s101
	s_delay_alu instid0(SALU_CYCLE_1) | instskip(SKIP_1) | instid1(SALU_CYCLE_1)
	s_addc_u32 s24, s57, s24
	s_mul_i32 s57, s5, s100
	s_add_u32 s23, s23, s57
	s_mul_hi_u32 s57, s5, s100
	s_delay_alu instid0(SALU_CYCLE_1)
	s_addc_u32 s24, s24, s57
	s_add_u32 s72, s23, s72
	s_addc_u32 s73, s24, s73
	s_mul_i32 s23, s102, s96
	s_mul_i32 s57, s103, s95
	s_and_b32 s24, s72, 0x3ffffff
	s_lshr_b64 s[86:87], s[72:73], 26
	s_add_u32 s23, s57, s23
	s_mul_hi_u32 s57, s102, s96
	s_mul_i32 s73, s28, s97
	s_addc_u32 s57, s60, s57
	s_mul_i32 s60, s104, s7
	s_delay_alu instid0(SALU_CYCLE_1) | instskip(SKIP_1) | instid1(SALU_CYCLE_1)
	s_add_u32 s23, s23, s60
	s_mul_hi_u32 s60, s104, s7
	s_addc_u32 s57, s57, s60
	s_mul_i32 s60, vcc_lo, s6
	s_delay_alu instid0(SALU_CYCLE_1) | instskip(SKIP_1) | instid1(SALU_CYCLE_1)
	s_add_u32 s23, s23, s60
	s_mul_hi_u32 s60, vcc_lo, s6
	s_addc_u32 s57, s57, s60
	s_mul_i32 s60, s16, s99
	s_delay_alu instid0(SALU_CYCLE_1) | instskip(SKIP_1) | instid1(SALU_CYCLE_1)
	s_add_u32 s23, s23, s60
	s_mul_hi_u32 s60, s16, s99
	s_addc_u32 s57, s57, s60
	s_mul_i32 s60, s17, s98
	s_delay_alu instid0(SALU_CYCLE_1) | instskip(SKIP_1) | instid1(SALU_CYCLE_1)
	s_add_u32 s23, s23, s60
	s_mul_hi_u32 s60, s17, s98
	s_addc_u32 s57, s57, s60
	s_mul_i32 s60, s18, s97
	s_delay_alu instid0(SALU_CYCLE_1)
	s_add_u32 s23, s23, s60
	s_addc_u32 s22, s57, s22
	s_add_u32 s23, s23, s74
	s_mul_i32 s57, s24, 0x3d10
	s_addc_u32 s22, s22, s75
	s_add_u32 s23, s23, s57
	s_mul_hi_u32 s57, s24, 0x3d10
	s_mul_hi_u32 s60, s103, s96
	s_addc_u32 s22, s22, s57
	s_add_u32 s58, s23, s58
	s_addc_u32 s59, s22, s59
	s_mul_hi_u32 s22, s18, s98
	s_mul_i32 s23, s19, s98
	s_mul_i32 s57, s5, s101
	s_add_i32 s22, s22, s23
	s_mul_i32 s23, s4, s83
	s_and_b32 s72, s58, 0x3ffffff
	s_lshr_b64 s[58:59], s[58:59], 26
	s_lshl_b64 s[74:75], s[24:25], 10
	s_add_u32 s23, s57, s23
	s_mul_hi_u32 s24, s4, s83
	s_mul_hi_u32 s57, s5, s101
	s_delay_alu instid0(SALU_CYCLE_1)
	s_addc_u32 s24, s57, s24
	s_add_u32 s86, s23, s86
	s_addc_u32 s87, s24, s87
	s_mul_i32 s23, s102, s97
	s_mul_i32 s57, s103, s96
	s_and_b32 s24, s86, 0x3ffffff
	s_lshr_b64 s[86:87], s[86:87], 26
	s_add_u32 s23, s57, s23
	s_mul_hi_u32 s57, s102, s97
	s_delay_alu instid0(SALU_CYCLE_1) | instskip(SKIP_1) | instid1(SALU_CYCLE_1)
	s_addc_u32 s57, s60, s57
	s_mul_i32 s60, s104, s95
	s_add_u32 s23, s23, s60
	s_mul_hi_u32 s60, s104, s95
	s_delay_alu instid0(SALU_CYCLE_1) | instskip(SKIP_1) | instid1(SALU_CYCLE_1)
	s_addc_u32 s57, s57, s60
	s_mul_i32 s60, vcc_lo, s7
	s_add_u32 s23, s23, s60
	s_mul_hi_u32 s60, vcc_lo, s7
	s_delay_alu instid0(SALU_CYCLE_1) | instskip(SKIP_1) | instid1(SALU_CYCLE_1)
	s_addc_u32 s57, s57, s60
	s_mul_i32 s60, vcc_hi, s6
	s_add_u32 s23, s23, s60
	s_mul_hi_u32 s60, vcc_hi, s6
	s_delay_alu instid0(SALU_CYCLE_1) | instskip(SKIP_1) | instid1(SALU_CYCLE_1)
	s_addc_u32 s57, s57, s60
	s_mul_i32 s60, s16, s100
	s_add_u32 s23, s23, s60
	s_mul_hi_u32 s60, s16, s100
	s_delay_alu instid0(SALU_CYCLE_1) | instskip(SKIP_1) | instid1(SALU_CYCLE_1)
	s_addc_u32 s57, s57, s60
	s_mul_i32 s60, s17, s99
	s_add_u32 s23, s23, s60
	s_mul_hi_u32 s60, s17, s99
	s_delay_alu instid0(SALU_CYCLE_1) | instskip(SKIP_1) | instid1(SALU_CYCLE_1)
	s_addc_u32 s57, s57, s60
	s_mul_i32 s60, s18, s98
	s_add_u32 s23, s23, s60
	s_addc_u32 s22, s57, s22
	s_add_u32 s23, s23, s74
	s_mul_i32 s57, s24, 0x3d10
	s_addc_u32 s22, s22, s75
	s_add_u32 s23, s23, s57
	s_mul_hi_u32 s57, s24, 0x3d10
	s_mul_hi_u32 s60, s103, s97
	s_addc_u32 s22, s22, s57
	s_add_u32 s58, s23, s58
	s_addc_u32 s59, s22, s59
	s_mul_hi_u32 s22, s18, s99
	s_mul_i32 s23, s19, s99
	s_mul_i32 s57, s5, s83
	s_add_i32 s22, s22, s23
	s_and_b32 s77, s58, 0x3ffffff
	s_lshr_b64 s[58:59], s[58:59], 26
	s_mul_hi_u32 s23, s5, s83
	s_lshl_b64 s[74:75], s[24:25], 10
	s_add_u32 s86, s86, s57
	s_addc_u32 s87, s87, s23
	s_mul_i32 s23, s102, s98
	s_mul_i32 s57, s103, s97
	s_and_b32 s24, s86, 0x3ffffff
	s_lshr_b64 s[88:89], s[86:87], 26
	s_add_u32 s23, s57, s23
	s_mul_hi_u32 s57, s102, s98
	v_alignbit_b32 v0, s87, s86, 26
	s_addc_u32 s57, s60, s57
	s_mul_i32 s60, s104, s96
	s_delay_alu instid0(SALU_CYCLE_1) | instskip(SKIP_1) | instid1(SALU_CYCLE_1)
	s_add_u32 s23, s23, s60
	s_mul_hi_u32 s60, s104, s96
	s_addc_u32 s57, s57, s60
	s_mul_i32 s60, vcc_lo, s95
	s_delay_alu instid0(SALU_CYCLE_1) | instskip(SKIP_1) | instid1(SALU_CYCLE_1)
	s_add_u32 s23, s23, s60
	s_mul_hi_u32 s60, vcc_lo, s95
	s_addc_u32 s57, s57, s60
	s_mul_i32 s60, vcc_hi, s7
	s_delay_alu instid0(SALU_CYCLE_1) | instskip(SKIP_1) | instid1(SALU_CYCLE_1)
	s_add_u32 s23, s23, s60
	s_mul_hi_u32 s60, vcc_hi, s7
	s_addc_u32 s57, s57, s60
	s_mul_i32 s60, s4, s6
	s_delay_alu instid0(SALU_CYCLE_1) | instskip(SKIP_1) | instid1(SALU_CYCLE_1)
	s_add_u32 s23, s23, s60
	s_mul_hi_u32 s60, s4, s6
	s_addc_u32 s57, s57, s60
	s_mul_i32 s60, s16, s101
	s_delay_alu instid0(SALU_CYCLE_1) | instskip(SKIP_1) | instid1(SALU_CYCLE_1)
	s_add_u32 s23, s23, s60
	s_mul_hi_u32 s60, s16, s101
	;; [unrolled: 5-line block ×3, first 2 shown]
	s_addc_u32 s57, s57, s60
	s_mul_i32 s60, s18, s99
	s_delay_alu instid0(SALU_CYCLE_1)
	s_add_u32 s23, s23, s60
	s_addc_u32 s22, s57, s22
	s_add_u32 s23, s23, s74
	s_mul_i32 s57, s24, 0x3d10
	s_addc_u32 s22, s22, s75
	s_add_u32 s23, s23, s57
	s_mul_hi_u32 s57, s24, 0x3d10
	s_mul_i32 s60, s28, s96
	s_addc_u32 s22, s22, s57
	s_add_u32 s58, s23, s58
	s_addc_u32 s59, s22, s59
	v_readfirstlane_b32 s22, v0
	s_and_b32 s86, s58, 0x3ffffff
	s_lshr_b64 s[58:59], s[58:59], 26
	s_lshl_b64 s[74:75], s[24:25], 10
	s_delay_alu instid0(VALU_DEP_1)
	s_mul_i32 s23, s22, 0x3d10
	s_mul_hi_u32 s22, s22, 0x3d10
	s_add_u32 s0, s23, s0
	s_addc_u32 s22, s22, 0
	s_add_u32 s0, s0, s74
	s_addc_u32 s22, s22, s75
	;; [unrolled: 2-line block ×3, first 2 shown]
	s_lshl_b64 s[74:75], s[88:89], 14
	s_and_b32 s90, s58, 0x3fffff
	s_lshr_b64 s[58:59], s[58:59], 22
	s_mul_hi_u32 s23, s96, s37
	s_add_u32 s58, s58, s74
	s_addc_u32 s59, s59, s75
	s_mul_hi_u32 s0, s58, 0x3d1
	s_mul_i32 s22, s59, 0x3d1
	s_delay_alu instid0(SALU_CYCLE_1) | instskip(SKIP_1) | instid1(SALU_CYCLE_1)
	s_add_i32 s22, s0, s22
	s_mul_i32 s0, s58, 0x3d1
	s_add_u32 s0, s0, s1
	s_addc_u32 s1, s22, 0
	s_lshl_b64 s[58:59], s[58:59], 6
	s_and_b32 s87, s0, 0x3ffffff
	s_lshr_b64 s[0:1], s[0:1], 26
	s_add_u32 s2, s58, s2
	s_addc_u32 s22, s59, 0
	s_add_u32 s0, s2, s0
	s_addc_u32 s1, s22, s1
	s_and_b32 s88, s0, 0x3ffffff
	s_lshr_b64 s[0:1], s[0:1], 26
	s_mul_i32 s2, s96, s35
	s_add_u32 s89, s0, s3
	s_addc_u32 s92, s1, 0
	s_mul_i32 s0, s29, s6
	s_mul_hi_u32 s1, s28, s6
	s_mul_hi_u32 s3, s96, s35
	s_add_i32 s1, s1, s0
	s_mul_i32 s0, s97, s34
	s_mul_i32 s22, s96, s37
	s_add_u32 s0, s0, s2
	s_mul_hi_u32 s2, s97, s34
	s_mul_i32 s59, s96, s40
	s_addc_u32 s2, s2, s3
	s_mul_i32 s3, s98, s31
	s_delay_alu instid0(SALU_CYCLE_1) | instskip(SKIP_1) | instid1(SALU_CYCLE_1)
	s_add_u32 s0, s0, s3
	s_mul_hi_u32 s3, s98, s31
	s_addc_u32 s2, s2, s3
	s_mul_i32 s3, s99, s30
	s_delay_alu instid0(SALU_CYCLE_1) | instskip(SKIP_1) | instid1(SALU_CYCLE_1)
	s_add_u32 s0, s0, s3
	s_mul_hi_u32 s3, s99, s30
	s_addc_u32 s2, s2, s3
	s_mul_i32 s3, s100, s42
	s_delay_alu instid0(SALU_CYCLE_1) | instskip(SKIP_1) | instid1(SALU_CYCLE_1)
	s_add_u32 s0, s0, s3
	s_mul_hi_u32 s3, s100, s42
	s_addc_u32 s2, s2, s3
	s_mul_i32 s3, s101, s43
	s_delay_alu instid0(SALU_CYCLE_1) | instskip(SKIP_1) | instid1(SALU_CYCLE_1)
	s_add_u32 s0, s0, s3
	s_mul_hi_u32 s3, s101, s43
	s_addc_u32 s2, s2, s3
	s_mul_i32 s3, s83, s41
	s_delay_alu instid0(SALU_CYCLE_1) | instskip(SKIP_1) | instid1(SALU_CYCLE_1)
	s_add_u32 s0, s0, s3
	s_mul_hi_u32 s3, s83, s41
	s_addc_u32 s2, s2, s3
	s_mul_i32 s3, s28, s6
	s_delay_alu instid0(SALU_CYCLE_1)
	s_add_u32 s0, s0, s3
	s_addc_u32 s1, s2, s1
	s_mul_i32 s2, s7, s40
	s_mul_hi_u32 s3, s28, s7
	s_add_u32 s0, s0, s2
	s_mul_hi_u32 s2, s7, s40
	s_delay_alu instid0(SALU_CYCLE_1) | instskip(SKIP_1) | instid1(SALU_CYCLE_1)
	s_addc_u32 s1, s1, s2
	s_mul_i32 s2, s95, s37
	s_add_u32 s0, s0, s2
	s_mul_hi_u32 s2, s95, s37
	s_delay_alu instid0(SALU_CYCLE_1)
	s_addc_u32 s1, s1, s2
	s_mul_i32 s2, s29, s7
	s_and_b32 s58, s0, 0x3ffffff
	s_add_i32 s3, s3, s2
	s_mul_i32 s2, s97, s35
	s_lshr_b64 s[0:1], s[0:1], 26
	s_add_u32 s2, s2, s22
	s_mul_hi_u32 s22, s97, s35
	s_delay_alu instid0(SALU_CYCLE_1) | instskip(SKIP_1) | instid1(SALU_CYCLE_1)
	s_addc_u32 s22, s22, s23
	s_mul_i32 s23, s98, s34
	s_add_u32 s2, s2, s23
	s_mul_hi_u32 s23, s98, s34
	s_delay_alu instid0(SALU_CYCLE_1) | instskip(SKIP_1) | instid1(SALU_CYCLE_1)
	s_addc_u32 s22, s22, s23
	s_mul_i32 s23, s99, s31
	;; [unrolled: 5-line block ×6, first 2 shown]
	s_add_u32 s2, s2, s23
	s_addc_u32 s3, s22, s3
	s_mul_i32 s22, s95, s40
	s_mul_hi_u32 s23, s28, s95
	s_add_u32 s2, s2, s22
	s_mul_hi_u32 s22, s95, s40
	s_delay_alu instid0(SALU_CYCLE_1)
	s_addc_u32 s3, s3, s22
	s_add_u32 s0, s2, s0
	s_addc_u32 s1, s3, s1
	s_and_b32 s24, s0, 0x3ffffff
	s_mul_i32 s2, s6, s41
	s_mul_i32 s3, s24, 0x3d10
	s_lshr_b64 s[0:1], s[0:1], 26
	s_add_u32 s2, s3, s2
	s_mul_hi_u32 s3, s6, s41
	s_mul_hi_u32 s22, s24, 0x3d10
	s_delay_alu instid0(SALU_CYCLE_1)
	s_addc_u32 s3, s22, s3
	s_mul_i32 s22, s29, s95
	s_and_b32 s57, s2, 0x3ffffff
	s_add_i32 s23, s23, s22
	s_mul_i32 s22, s97, s37
	s_lshr_b64 s[2:3], s[2:3], 26
	s_lshl_b64 s[74:75], s[24:25], 10
	s_add_u32 s22, s22, s59
	s_mul_hi_u32 s24, s97, s37
	s_mul_hi_u32 s59, s96, s40
	s_delay_alu instid0(SALU_CYCLE_1) | instskip(SKIP_1) | instid1(SALU_CYCLE_1)
	s_addc_u32 s24, s24, s59
	s_mul_i32 s59, s98, s35
	s_add_u32 s22, s22, s59
	s_mul_hi_u32 s59, s98, s35
	s_delay_alu instid0(SALU_CYCLE_1) | instskip(SKIP_1) | instid1(SALU_CYCLE_1)
	s_addc_u32 s24, s24, s59
	s_mul_i32 s59, s99, s34
	s_add_u32 s22, s22, s59
	;; [unrolled: 5-line block ×6, first 2 shown]
	s_addc_u32 s23, s24, s23
	s_add_u32 s0, s22, s0
	s_addc_u32 s1, s23, s1
	s_mul_i32 s22, s7, s41
	s_mul_i32 s23, s6, s43
	s_and_b32 s24, s0, 0x3ffffff
	s_lshr_b64 s[0:1], s[0:1], 26
	s_add_u32 s22, s22, s23
	s_mul_hi_u32 s23, s7, s41
	s_mul_hi_u32 s59, s6, s43
	s_delay_alu instid0(SALU_CYCLE_1)
	s_addc_u32 s23, s23, s59
	s_add_u32 s22, s22, s74
	s_addc_u32 s23, s23, s75
	s_add_u32 s2, s22, s2
	s_mul_i32 s22, s24, 0x3d10
	s_addc_u32 s3, s23, s3
	s_add_u32 s2, s2, s22
	s_mul_hi_u32 s22, s24, 0x3d10
	s_mul_hi_u32 s23, s28, s96
	s_addc_u32 s3, s3, s22
	s_mul_i32 s22, s29, s96
	s_and_b32 s59, s2, 0x3ffffff
	s_add_i32 s23, s23, s22
	s_mul_i32 s22, s97, s40
	s_lshr_b64 s[2:3], s[2:3], 26
	s_lshl_b64 s[74:75], s[24:25], 10
	s_mul_hi_u32 s24, s97, s40
	s_add_u32 s22, s22, s60
	s_addc_u32 s23, s24, s23
	s_mul_i32 s24, s98, s37
	s_mul_hi_u32 s60, s6, s42
	s_add_u32 s22, s22, s24
	s_mul_hi_u32 s24, s98, s37
	s_delay_alu instid0(SALU_CYCLE_1) | instskip(SKIP_1) | instid1(SALU_CYCLE_1)
	s_addc_u32 s23, s23, s24
	s_mul_i32 s24, s99, s35
	s_add_u32 s22, s22, s24
	s_mul_hi_u32 s24, s99, s35
	s_delay_alu instid0(SALU_CYCLE_1) | instskip(SKIP_1) | instid1(SALU_CYCLE_1)
	s_addc_u32 s23, s23, s24
	s_mul_i32 s24, s100, s34
	;; [unrolled: 5-line block ×4, first 2 shown]
	s_add_u32 s22, s22, s24
	s_mul_hi_u32 s24, s83, s30
	s_delay_alu instid0(SALU_CYCLE_1)
	s_addc_u32 s23, s23, s24
	s_add_u32 s0, s22, s0
	s_addc_u32 s1, s23, s1
	s_mul_i32 s22, s7, s43
	s_mul_i32 s23, s6, s42
	s_and_b32 s24, s0, 0x3ffffff
	s_lshr_b64 s[0:1], s[0:1], 26
	s_add_u32 s22, s22, s23
	s_mul_hi_u32 s23, s7, s43
	s_delay_alu instid0(SALU_CYCLE_1) | instskip(SKIP_1) | instid1(SALU_CYCLE_1)
	s_addc_u32 s23, s23, s60
	s_mul_i32 s60, s95, s41
	s_add_u32 s22, s22, s60
	s_mul_hi_u32 s60, s95, s41
	s_delay_alu instid0(SALU_CYCLE_1)
	s_addc_u32 s23, s23, s60
	s_add_u32 s22, s22, s74
	s_mul_i32 s60, s24, 0x3d10
	s_addc_u32 s23, s23, s75
	s_add_u32 s22, s22, s60
	s_mul_hi_u32 s60, s24, 0x3d10
	s_delay_alu instid0(SALU_CYCLE_1)
	s_addc_u32 s23, s23, s60
	s_add_u32 s2, s22, s2
	s_addc_u32 s3, s23, s3
	s_mul_i32 s22, s29, s97
	s_mul_hi_u32 s23, s28, s97
	s_and_b32 s60, s2, 0x3ffffff
	s_add_i32 s23, s23, s22
	s_mul_i32 s22, s98, s40
	s_lshr_b64 s[2:3], s[2:3], 26
	s_lshl_b64 s[74:75], s[24:25], 10
	s_mul_hi_u32 s24, s98, s40
	s_add_u32 s22, s22, s73
	s_addc_u32 s23, s24, s23
	s_mul_i32 s24, s99, s37
	s_mul_hi_u32 s73, s6, s30
	s_add_u32 s22, s22, s24
	s_mul_hi_u32 s24, s99, s37
	s_delay_alu instid0(SALU_CYCLE_1) | instskip(SKIP_1) | instid1(SALU_CYCLE_1)
	s_addc_u32 s23, s23, s24
	s_mul_i32 s24, s100, s35
	s_add_u32 s22, s22, s24
	s_mul_hi_u32 s24, s100, s35
	s_delay_alu instid0(SALU_CYCLE_1) | instskip(SKIP_1) | instid1(SALU_CYCLE_1)
	s_addc_u32 s23, s23, s24
	s_mul_i32 s24, s101, s34
	;; [unrolled: 5-line block ×3, first 2 shown]
	s_add_u32 s22, s22, s24
	s_mul_hi_u32 s24, s83, s31
	s_delay_alu instid0(SALU_CYCLE_1)
	s_addc_u32 s23, s23, s24
	s_add_u32 s0, s22, s0
	s_addc_u32 s1, s23, s1
	s_mul_i32 s22, s96, s41
	s_mul_i32 s23, s6, s30
	s_and_b32 s24, s0, 0x3ffffff
	s_lshr_b64 s[0:1], s[0:1], 26
	s_add_u32 s22, s23, s22
	s_mul_hi_u32 s23, s96, s41
	s_delay_alu instid0(SALU_CYCLE_1) | instskip(SKIP_1) | instid1(SALU_CYCLE_1)
	s_addc_u32 s23, s73, s23
	s_mul_i32 s73, s7, s42
	s_add_u32 s22, s22, s73
	s_mul_hi_u32 s73, s7, s42
	s_delay_alu instid0(SALU_CYCLE_1) | instskip(SKIP_1) | instid1(SALU_CYCLE_1)
	s_addc_u32 s23, s23, s73
	s_mul_i32 s73, s95, s43
	s_add_u32 s22, s22, s73
	s_mul_hi_u32 s73, s95, s43
	s_delay_alu instid0(SALU_CYCLE_1)
	s_addc_u32 s23, s23, s73
	s_add_u32 s22, s22, s74
	s_mul_i32 s73, s24, 0x3d10
	s_addc_u32 s23, s23, s75
	s_add_u32 s22, s22, s73
	s_mul_hi_u32 s73, s24, 0x3d10
	s_delay_alu instid0(SALU_CYCLE_1)
	s_addc_u32 s23, s23, s73
	s_add_u32 s2, s22, s2
	s_addc_u32 s3, s23, s3
	s_mul_i32 s22, s29, s98
	s_mul_hi_u32 s23, s28, s98
	s_mul_i32 s73, s28, s98
	s_add_i32 s23, s23, s22
	s_mul_i32 s22, s99, s40
	s_and_b32 s91, s2, 0x3ffffff
	s_lshr_b64 s[2:3], s[2:3], 26
	s_lshl_b64 s[74:75], s[24:25], 10
	s_mul_hi_u32 s24, s99, s40
	s_add_u32 s22, s22, s73
	s_addc_u32 s23, s24, s23
	s_mul_i32 s24, s100, s37
	s_mul_hi_u32 s73, s96, s43
	s_add_u32 s22, s22, s24
	s_mul_hi_u32 s24, s100, s37
	s_delay_alu instid0(SALU_CYCLE_1) | instskip(SKIP_1) | instid1(SALU_CYCLE_1)
	s_addc_u32 s23, s23, s24
	s_mul_i32 s24, s101, s35
	s_add_u32 s22, s22, s24
	s_mul_hi_u32 s24, s101, s35
	s_delay_alu instid0(SALU_CYCLE_1) | instskip(SKIP_1) | instid1(SALU_CYCLE_1)
	s_addc_u32 s23, s23, s24
	s_mul_i32 s24, s83, s34
	s_add_u32 s22, s22, s24
	s_mul_hi_u32 s24, s83, s34
	s_delay_alu instid0(SALU_CYCLE_1)
	s_addc_u32 s23, s23, s24
	s_add_u32 s0, s22, s0
	s_addc_u32 s1, s23, s1
	s_mul_i32 s22, s97, s41
	s_mul_i32 s23, s96, s43
	s_and_b32 s24, s0, 0x3ffffff
	s_lshr_b64 s[0:1], s[0:1], 26
	s_add_u32 s22, s22, s23
	s_mul_hi_u32 s23, s97, s41
	s_delay_alu instid0(SALU_CYCLE_1) | instskip(SKIP_1) | instid1(SALU_CYCLE_1)
	s_addc_u32 s23, s23, s73
	s_mul_i32 s73, s6, s31
	s_add_u32 s22, s22, s73
	s_mul_hi_u32 s73, s6, s31
	s_delay_alu instid0(SALU_CYCLE_1) | instskip(SKIP_1) | instid1(SALU_CYCLE_1)
	s_addc_u32 s23, s23, s73
	s_mul_i32 s73, s7, s30
	;; [unrolled: 5-line block ×3, first 2 shown]
	s_add_u32 s22, s22, s73
	s_mul_hi_u32 s73, s95, s42
	s_delay_alu instid0(SALU_CYCLE_1)
	s_addc_u32 s23, s23, s73
	s_add_u32 s22, s22, s74
	s_mul_i32 s73, s24, 0x3d10
	s_addc_u32 s23, s23, s75
	s_add_u32 s22, s22, s73
	s_mul_hi_u32 s73, s24, 0x3d10
	s_mul_i32 s74, s100, s40
	s_addc_u32 s23, s23, s73
	s_add_u32 s2, s22, s2
	s_addc_u32 s3, s23, s3
	s_mul_i32 s22, s29, s99
	s_mul_hi_u32 s23, s28, s99
	s_and_b32 s75, s2, 0x3ffffff
	s_add_i32 s73, s23, s22
	s_lshr_b64 s[2:3], s[2:3], 26
	s_lshl_b64 s[22:23], s[24:25], 10
	s_add_u32 s24, s74, s56
	s_mul_hi_u32 s56, s100, s40
	s_mul_hi_u32 s74, s96, s42
	s_addc_u32 s56, s56, s73
	s_mul_i32 s73, s101, s37
	s_delay_alu instid0(SALU_CYCLE_1) | instskip(SKIP_1) | instid1(SALU_CYCLE_1)
	s_add_u32 s24, s24, s73
	s_mul_hi_u32 s73, s101, s37
	s_addc_u32 s56, s56, s73
	s_mul_i32 s73, s83, s35
	s_delay_alu instid0(SALU_CYCLE_1) | instskip(SKIP_1) | instid1(SALU_CYCLE_1)
	s_add_u32 s24, s24, s73
	s_mul_hi_u32 s73, s83, s35
	s_addc_u32 s56, s56, s73
	s_add_u32 s0, s24, s0
	s_addc_u32 s1, s56, s1
	s_mul_i32 s56, s97, s43
	s_mul_i32 s73, s96, s42
	s_and_b32 s24, s0, 0x3ffffff
	s_lshr_b64 s[0:1], s[0:1], 26
	s_add_u32 s56, s56, s73
	s_mul_hi_u32 s73, s97, s43
	s_delay_alu instid0(SALU_CYCLE_1) | instskip(SKIP_1) | instid1(SALU_CYCLE_1)
	s_addc_u32 s73, s73, s74
	s_mul_i32 s74, s98, s41
	s_add_u32 s56, s56, s74
	s_mul_hi_u32 s74, s98, s41
	s_delay_alu instid0(SALU_CYCLE_1) | instskip(SKIP_1) | instid1(SALU_CYCLE_1)
	s_addc_u32 s73, s73, s74
	s_mul_i32 s74, s6, s34
	;; [unrolled: 5-line block ×4, first 2 shown]
	s_add_u32 s56, s56, s74
	s_mul_hi_u32 s74, s95, s30
	s_delay_alu instid0(SALU_CYCLE_1)
	s_addc_u32 s73, s73, s74
	s_add_u32 s22, s56, s22
	s_mul_i32 s56, s24, 0x3d10
	s_addc_u32 s23, s73, s23
	s_add_u32 s22, s22, s56
	s_mul_hi_u32 s56, s24, 0x3d10
	s_mul_i32 s74, s101, s40
	s_addc_u32 s23, s23, s56
	s_add_u32 s2, s22, s2
	s_addc_u32 s3, s23, s3
	s_mul_i32 s22, s29, s100
	s_mul_hi_u32 s23, s28, s100
	s_and_b32 s73, s2, 0x3ffffff
	s_add_i32 s56, s23, s22
	s_lshr_b64 s[2:3], s[2:3], 26
	s_lshl_b64 s[22:23], s[24:25], 10
	s_add_u32 s24, s74, s33
	s_mul_hi_u32 s33, s101, s40
	s_mul_hi_u32 s74, s96, s30
	s_addc_u32 s33, s33, s56
	s_mul_i32 s56, s83, s37
	s_delay_alu instid0(SALU_CYCLE_1) | instskip(SKIP_1) | instid1(SALU_CYCLE_1)
	s_add_u32 s24, s24, s56
	s_mul_hi_u32 s56, s83, s37
	s_addc_u32 s33, s33, s56
	s_add_u32 s0, s24, s0
	s_addc_u32 s1, s33, s1
	s_mul_i32 s33, s97, s42
	s_mul_i32 s56, s96, s30
	s_and_b32 s24, s0, 0x3ffffff
	s_lshr_b64 s[0:1], s[0:1], 26
	s_add_u32 s33, s33, s56
	s_mul_hi_u32 s56, s97, s42
	s_delay_alu instid0(SALU_CYCLE_1) | instskip(SKIP_1) | instid1(SALU_CYCLE_1)
	s_addc_u32 s56, s56, s74
	s_mul_i32 s74, s98, s43
	s_add_u32 s33, s33, s74
	s_mul_hi_u32 s74, s98, s43
	s_delay_alu instid0(SALU_CYCLE_1) | instskip(SKIP_1) | instid1(SALU_CYCLE_1)
	s_addc_u32 s56, s56, s74
	s_mul_i32 s74, s99, s41
	;; [unrolled: 5-line block ×5, first 2 shown]
	s_add_u32 s33, s33, s74
	s_mul_hi_u32 s74, s95, s31
	s_delay_alu instid0(SALU_CYCLE_1)
	s_addc_u32 s56, s56, s74
	s_add_u32 s22, s33, s22
	s_mul_i32 s33, s24, 0x3d10
	s_addc_u32 s23, s56, s23
	s_add_u32 s22, s22, s33
	s_mul_hi_u32 s33, s24, 0x3d10
	s_mul_i32 s56, s83, s40
	s_addc_u32 s23, s23, s33
	s_add_u32 s2, s22, s2
	s_addc_u32 s3, s23, s3
	s_mul_i32 s22, s29, s101
	s_mul_hi_u32 s23, s28, s101
	s_and_b32 s74, s2, 0x3ffffff
	s_add_i32 s33, s23, s22
	s_lshr_b64 s[2:3], s[2:3], 26
	s_lshl_b64 s[22:23], s[24:25], 10
	s_add_u32 s24, s56, s26
	s_mul_hi_u32 s26, s83, s40
	s_delay_alu instid0(SALU_CYCLE_1)
	s_addc_u32 s26, s26, s33
	s_add_u32 s0, s24, s0
	s_addc_u32 s1, s26, s1
	s_mul_i32 s26, s97, s30
	s_and_b32 s24, s0, 0x3ffffff
	s_lshr_b64 s[0:1], s[0:1], 26
	s_add_u32 s26, s26, s27
	s_mul_hi_u32 s27, s97, s30
	s_mul_hi_u32 s33, s96, s31
	s_delay_alu instid0(SALU_CYCLE_1) | instskip(SKIP_1) | instid1(SALU_CYCLE_1)
	s_addc_u32 s27, s27, s33
	s_mul_i32 s33, s98, s42
	s_add_u32 s26, s26, s33
	s_mul_hi_u32 s33, s98, s42
	s_delay_alu instid0(SALU_CYCLE_1) | instskip(SKIP_1) | instid1(SALU_CYCLE_1)
	s_addc_u32 s27, s27, s33
	s_mul_i32 s33, s99, s43
	s_add_u32 s26, s26, s33
	;; [unrolled: 5-line block ×6, first 2 shown]
	s_mul_hi_u32 s33, s95, s34
	s_delay_alu instid0(SALU_CYCLE_1)
	s_addc_u32 s27, s27, s33
	s_add_u32 s22, s26, s22
	s_mul_i32 s26, s24, 0x3d10
	s_addc_u32 s23, s27, s23
	s_add_u32 s22, s22, s26
	s_mul_hi_u32 s26, s24, 0x3d10
	s_mul_hi_u32 s33, s99, s42
	s_addc_u32 s23, s23, s26
	s_add_u32 s2, s22, s2
	s_addc_u32 s3, s23, s3
	s_mul_i32 s22, s29, s83
	s_mul_hi_u32 s23, s28, s83
	s_mul_i32 s26, s28, s83
	s_add_i32 s27, s23, s22
	s_and_b32 s83, s2, 0x3ffffff
	s_lshr_b64 s[2:3], s[2:3], 26
	s_lshl_b64 s[22:23], s[24:25], 10
	s_add_u32 s28, s0, s26
	s_addc_u32 s29, s1, s27
	s_mul_hi_u32 s26, s101, s41
	s_mul_i32 s101, s101, s41
	s_mul_hi_u32 s41, s98, s30
	s_mul_i32 s98, s98, s30
	;; [unrolled: 2-line block ×4, first 2 shown]
	s_and_b32 s24, s28, 0x3ffffff
	s_lshr_b64 s[0:1], s[28:29], 26
	s_mul_hi_u32 s34, s95, s35
	s_mul_i32 s95, s95, s35
	s_mul_hi_u32 s35, s7, s37
	s_mul_i32 s7, s7, s37
	;; [unrolled: 2-line block ×3, first 2 shown]
	s_add_u32 s40, s97, s96
	s_addc_u32 s30, s30, s31
	s_mul_i32 s99, s99, s42
	s_add_u32 s31, s40, s98
	s_addc_u32 s30, s30, s41
	s_mul_hi_u32 s27, s100, s43
	s_mul_i32 s100, s100, s43
	s_add_u32 s31, s31, s99
	s_addc_u32 s30, s30, s33
	s_add_u32 s31, s31, s100
	s_addc_u32 s27, s30, s27
	;; [unrolled: 2-line block ×6, first 2 shown]
	s_add_u32 s6, s6, s22
	s_mul_i32 s22, s24, 0x3d10
	s_addc_u32 s7, s7, s23
	v_alignbit_b32 v0, s29, s28, 26
	s_add_u32 s6, s6, s22
	s_mul_hi_u32 s22, s24, 0x3d10
	s_mul_i32 s26, s103, s11
	s_addc_u32 s7, s7, s22
	s_add_u32 s2, s6, s2
	s_addc_u32 s3, s7, s3
	v_readfirstlane_b32 s7, v0
	s_lshr_b32 s6, s29, 26
	s_and_b32 s40, s2, 0x3ffffff
	s_mulk_i32 s6, 0x3d10
	s_lshr_b64 s[2:3], s[2:3], 26
	s_mul_hi_u32 s22, s7, 0x3d10
	s_mul_i32 s23, s7, 0x3d10
	s_add_i32 s22, s22, s6
	s_lshl_b64 s[6:7], s[24:25], 10
	s_add_u32 s23, s23, s58
	s_addc_u32 s22, s22, 0
	s_add_u32 s6, s23, s6
	s_addc_u32 s7, s22, s7
	;; [unrolled: 2-line block ×3, first 2 shown]
	s_lshl_b64 s[0:1], s[0:1], 14
	s_and_b32 s24, s2, 0x3fffff
	s_lshr_b64 s[2:3], s[2:3], 22
	s_mul_i32 s6, s103, s9
	s_add_u32 s0, s2, s0
	s_addc_u32 s1, s3, s1
	s_mul_hi_u32 s2, s0, 0x3d1
	s_mul_i32 s3, s1, 0x3d1
	s_mul_hi_u32 s7, s103, s9
	s_add_i32 s3, s2, s3
	s_mul_i32 s2, s0, 0x3d1
	s_mul_i32 s22, s19, s52
	s_add_u32 s2, s2, s57
	s_addc_u32 s3, s3, 0
	s_lshl_b64 s[0:1], s[0:1], 6
	s_and_b32 s41, s2, 0x3ffffff
	s_lshr_b64 s[2:3], s[2:3], 26
	s_add_u32 s0, s0, s59
	s_addc_u32 s1, s1, 0
	s_add_u32 s0, s0, s2
	s_addc_u32 s1, s1, s3
	s_mul_hi_u32 s2, s18, s11
	v_alignbit_b32 v0, s1, s0, 26
	s_mul_i32 s3, s19, s11
	s_and_b32 s43, s0, 0x3ffffff
	s_mul_i32 s0, s103, s51
	s_add_i32 s2, s2, s3
	v_readfirstlane_b32 s1, v0
	s_mul_hi_u32 s3, s103, s51
	s_mul_i32 s23, s102, s13
	s_mul_hi_u32 s27, s103, s11
	s_mul_hi_u32 s31, s17, s10
	s_add_i32 s42, s1, s60
	s_mul_i32 s1, s102, s9
	s_mul_hi_u32 s33, s16, s14
	s_add_u32 s0, s0, s1
	s_mul_hi_u32 s1, s102, s9
	s_delay_alu instid0(SALU_CYCLE_1) | instskip(SKIP_1) | instid1(SALU_CYCLE_1)
	s_addc_u32 s1, s3, s1
	s_mul_i32 s3, s104, s15
	s_add_u32 s0, s0, s3
	s_mul_hi_u32 s3, s104, s15
	s_delay_alu instid0(SALU_CYCLE_1) | instskip(SKIP_1) | instid1(SALU_CYCLE_1)
	s_addc_u32 s1, s1, s3
	s_mul_i32 s3, vcc_lo, s14
	s_add_u32 s0, s0, s3
	s_mul_hi_u32 s3, vcc_lo, s14
	s_delay_alu instid0(SALU_CYCLE_1) | instskip(SKIP_1) | instid1(SALU_CYCLE_1)
	s_addc_u32 s1, s1, s3
	s_mul_i32 s3, vcc_hi, s12
	s_add_u32 s0, s0, s3
	s_mul_hi_u32 s3, vcc_hi, s12
	s_delay_alu instid0(SALU_CYCLE_1) | instskip(SKIP_1) | instid1(SALU_CYCLE_1)
	s_addc_u32 s1, s1, s3
	s_mul_i32 s3, s4, s10
	s_add_u32 s0, s0, s3
	s_mul_hi_u32 s3, s4, s10
	s_delay_alu instid0(SALU_CYCLE_1) | instskip(SKIP_1) | instid1(SALU_CYCLE_1)
	s_addc_u32 s1, s1, s3
	s_mul_i32 s3, s5, s8
	s_add_u32 s0, s0, s3
	s_mul_hi_u32 s3, s5, s8
	;; [unrolled: 5-line block ×4, first 2 shown]
	s_delay_alu instid0(SALU_CYCLE_1) | instskip(SKIP_1) | instid1(SALU_CYCLE_1)
	s_addc_u32 s1, s1, s3
	s_mul_i32 s3, s18, s11
	s_add_u32 s0, s0, s3
	s_addc_u32 s1, s1, s2
	s_mul_hi_u32 s2, s18, s13
	s_mul_i32 s3, s19, s13
	s_and_b32 s28, s0, 0x3ffffff
	s_add_i32 s2, s2, s3
	s_mul_i32 s3, s102, s11
	s_lshr_b64 s[0:1], s[0:1], 26
	s_add_u32 s3, s6, s3
	s_mul_hi_u32 s6, s102, s11
	s_delay_alu instid0(SALU_CYCLE_1) | instskip(SKIP_1) | instid1(SALU_CYCLE_1)
	s_addc_u32 s6, s7, s6
	s_mul_i32 s7, s104, s51
	s_add_u32 s3, s3, s7
	s_mul_hi_u32 s7, s104, s51
	s_delay_alu instid0(SALU_CYCLE_1) | instskip(SKIP_1) | instid1(SALU_CYCLE_1)
	s_addc_u32 s6, s6, s7
	s_mul_i32 s7, vcc_lo, s15
	s_add_u32 s3, s3, s7
	s_mul_hi_u32 s7, vcc_lo, s15
	s_delay_alu instid0(SALU_CYCLE_1) | instskip(SKIP_1) | instid1(SALU_CYCLE_1)
	s_addc_u32 s6, s6, s7
	s_mul_i32 s7, vcc_hi, s14
	s_add_u32 s3, s3, s7
	s_mul_hi_u32 s7, vcc_hi, s14
	s_delay_alu instid0(SALU_CYCLE_1) | instskip(SKIP_1) | instid1(SALU_CYCLE_1)
	s_addc_u32 s6, s6, s7
	s_mul_i32 s7, s4, s12
	s_add_u32 s3, s3, s7
	s_mul_hi_u32 s7, s4, s12
	s_delay_alu instid0(SALU_CYCLE_1) | instskip(SKIP_1) | instid1(SALU_CYCLE_1)
	s_addc_u32 s6, s6, s7
	s_mul_i32 s7, s5, s10
	s_add_u32 s3, s3, s7
	s_mul_hi_u32 s7, s5, s10
	;; [unrolled: 5-line block ×3, first 2 shown]
	s_delay_alu instid0(SALU_CYCLE_1) | instskip(SKIP_1) | instid1(SALU_CYCLE_1)
	s_addc_u32 s6, s6, s7
	s_mul_i32 s7, s18, s13
	s_add_u32 s3, s3, s7
	s_addc_u32 s2, s6, s2
	s_add_u32 s0, s3, s0
	s_addc_u32 s1, s2, s1
	s_and_b32 s2, s0, 0x3ffffff
	s_mul_i32 s3, s16, s8
	s_mul_i32 s6, s2, 0x3d10
	s_lshr_b64 s[0:1], s[0:1], 26
	s_add_u32 s6, s6, s3
	s_mul_hi_u32 s3, s16, s8
	s_mul_hi_u32 s7, s2, 0x3d10
	s_delay_alu instid0(SALU_CYCLE_1)
	s_addc_u32 s7, s7, s3
	s_mul_hi_u32 s3, s18, s52
	s_and_b32 s29, s6, 0x3ffffff
	s_add_i32 s22, s3, s22
	s_mov_b32 s3, s25
	s_lshr_b64 s[6:7], s[6:7], 26
	s_lshl_b64 s[2:3], s[2:3], 10
	s_add_u32 s23, s26, s23
	s_mul_hi_u32 s26, s102, s13
	s_delay_alu instid0(SALU_CYCLE_1) | instskip(SKIP_1) | instid1(SALU_CYCLE_1)
	s_addc_u32 s26, s27, s26
	s_mul_i32 s27, s104, s9
	s_add_u32 s23, s23, s27
	s_mul_hi_u32 s27, s104, s9
	s_delay_alu instid0(SALU_CYCLE_1) | instskip(SKIP_1) | instid1(SALU_CYCLE_1)
	s_addc_u32 s26, s26, s27
	s_mul_i32 s27, vcc_lo, s51
	s_add_u32 s23, s23, s27
	s_mul_hi_u32 s27, vcc_lo, s51
	s_delay_alu instid0(SALU_CYCLE_1) | instskip(SKIP_1) | instid1(SALU_CYCLE_1)
	s_addc_u32 s26, s26, s27
	s_mul_i32 s27, vcc_hi, s15
	s_add_u32 s23, s23, s27
	s_mul_hi_u32 s27, vcc_hi, s15
	s_delay_alu instid0(SALU_CYCLE_1) | instskip(SKIP_1) | instid1(SALU_CYCLE_1)
	s_addc_u32 s26, s26, s27
	s_mul_i32 s27, s4, s14
	s_add_u32 s23, s23, s27
	s_mul_hi_u32 s27, s4, s14
	s_delay_alu instid0(SALU_CYCLE_1) | instskip(SKIP_1) | instid1(SALU_CYCLE_1)
	s_addc_u32 s26, s26, s27
	s_mul_i32 s27, s5, s12
	s_add_u32 s23, s23, s27
	s_mul_hi_u32 s27, s5, s12
	s_delay_alu instid0(SALU_CYCLE_1) | instskip(SKIP_1) | instid1(SALU_CYCLE_1)
	s_addc_u32 s26, s26, s27
	s_mul_i32 s27, s18, s52
	s_add_u32 s23, s23, s27
	s_addc_u32 s22, s26, s22
	s_add_u32 s0, s23, s0
	s_addc_u32 s1, s22, s1
	s_mul_i32 s23, s16, s10
	s_mul_i32 s26, s17, s8
	s_and_b32 s22, s0, 0x3ffffff
	s_lshr_b64 s[0:1], s[0:1], 26
	s_add_u32 s23, s26, s23
	s_mul_hi_u32 s26, s16, s10
	s_mul_hi_u32 s27, s17, s8
	s_delay_alu instid0(SALU_CYCLE_1)
	s_addc_u32 s26, s27, s26
	s_add_u32 s2, s23, s2
	s_addc_u32 s3, s26, s3
	s_add_u32 s2, s2, s6
	s_mul_i32 s6, s22, 0x3d10
	s_addc_u32 s3, s3, s7
	s_add_u32 s2, s2, s6
	s_mul_hi_u32 s6, s22, 0x3d10
	s_mul_i32 s7, s19, s8
	s_addc_u32 s3, s3, s6
	s_mul_hi_u32 s6, s18, s8
	s_mov_b32 s23, s25
	s_add_i32 s26, s6, s7
	s_lshl_b64 s[6:7], s[22:23], 10
	s_mul_i32 s22, s102, s52
	s_mul_i32 s23, s103, s13
	s_and_b32 s30, s2, 0x3ffffff
	s_lshr_b64 s[2:3], s[2:3], 26
	s_add_u32 s22, s23, s22
	s_mul_hi_u32 s23, s102, s52
	s_mul_hi_u32 s27, s103, s13
	s_delay_alu instid0(SALU_CYCLE_1) | instskip(SKIP_1) | instid1(SALU_CYCLE_1)
	s_addc_u32 s23, s27, s23
	s_mul_i32 s27, s104, s11
	s_add_u32 s22, s22, s27
	s_mul_hi_u32 s27, s104, s11
	s_delay_alu instid0(SALU_CYCLE_1) | instskip(SKIP_1) | instid1(SALU_CYCLE_1)
	s_addc_u32 s23, s23, s27
	s_mul_i32 s27, vcc_lo, s9
	s_add_u32 s22, s22, s27
	s_mul_hi_u32 s27, vcc_lo, s9
	s_delay_alu instid0(SALU_CYCLE_1) | instskip(SKIP_1) | instid1(SALU_CYCLE_1)
	s_addc_u32 s23, s23, s27
	s_mul_i32 s27, vcc_hi, s51
	s_add_u32 s22, s22, s27
	s_mul_hi_u32 s27, vcc_hi, s51
	s_delay_alu instid0(SALU_CYCLE_1) | instskip(SKIP_1) | instid1(SALU_CYCLE_1)
	s_addc_u32 s23, s23, s27
	s_mul_i32 s27, s4, s15
	s_add_u32 s22, s22, s27
	s_mul_hi_u32 s27, s4, s15
	s_delay_alu instid0(SALU_CYCLE_1) | instskip(SKIP_1) | instid1(SALU_CYCLE_1)
	s_addc_u32 s23, s23, s27
	s_mul_i32 s27, s5, s14
	s_add_u32 s22, s22, s27
	s_mul_hi_u32 s27, s5, s14
	s_delay_alu instid0(SALU_CYCLE_1)
	s_addc_u32 s23, s23, s27
	s_add_u32 s0, s22, s0
	s_addc_u32 s1, s23, s1
	s_mul_i32 s23, s16, s12
	s_mul_i32 s27, s17, s10
	s_and_b32 s22, s0, 0x3ffffff
	s_lshr_b64 s[0:1], s[0:1], 26
	s_add_u32 s23, s27, s23
	s_mul_hi_u32 s27, s16, s12
	s_delay_alu instid0(SALU_CYCLE_1) | instskip(SKIP_1) | instid1(SALU_CYCLE_1)
	s_addc_u32 s27, s31, s27
	s_mul_i32 s31, s18, s8
	s_add_u32 s23, s23, s31
	s_addc_u32 s26, s27, s26
	s_add_u32 s6, s23, s6
	s_mul_i32 s23, s22, 0x3d10
	s_addc_u32 s7, s26, s7
	s_add_u32 s6, s6, s23
	s_mul_hi_u32 s23, s22, 0x3d10
	s_mul_hi_u32 s27, s104, s13
	s_addc_u32 s7, s7, s23
	s_add_u32 s2, s6, s2
	s_addc_u32 s3, s7, s3
	s_mul_hi_u32 s6, s18, s10
	s_mul_i32 s7, s19, s10
	s_mov_b32 s23, s25
	s_add_i32 s26, s6, s7
	s_lshl_b64 s[6:7], s[22:23], 10
	s_mul_i32 s22, s103, s52
	s_mul_i32 s23, s104, s13
	s_and_b32 s31, s2, 0x3ffffff
	s_lshr_b64 s[2:3], s[2:3], 26
	s_add_u32 s22, s23, s22
	s_mul_hi_u32 s23, s103, s52
	s_delay_alu instid0(SALU_CYCLE_1) | instskip(SKIP_1) | instid1(SALU_CYCLE_1)
	s_addc_u32 s23, s27, s23
	s_mul_i32 s27, vcc_lo, s11
	s_add_u32 s22, s22, s27
	s_mul_hi_u32 s27, vcc_lo, s11
	s_delay_alu instid0(SALU_CYCLE_1) | instskip(SKIP_1) | instid1(SALU_CYCLE_1)
	s_addc_u32 s23, s23, s27
	s_mul_i32 s27, vcc_hi, s9
	s_add_u32 s22, s22, s27
	s_mul_hi_u32 s27, vcc_hi, s9
	s_delay_alu instid0(SALU_CYCLE_1) | instskip(SKIP_1) | instid1(SALU_CYCLE_1)
	s_addc_u32 s23, s23, s27
	s_mul_i32 s27, s4, s51
	s_add_u32 s22, s22, s27
	s_mul_hi_u32 s27, s4, s51
	s_delay_alu instid0(SALU_CYCLE_1) | instskip(SKIP_1) | instid1(SALU_CYCLE_1)
	s_addc_u32 s23, s23, s27
	s_mul_i32 s27, s5, s15
	s_add_u32 s22, s22, s27
	s_mul_hi_u32 s27, s5, s15
	s_delay_alu instid0(SALU_CYCLE_1)
	s_addc_u32 s23, s23, s27
	s_add_u32 s0, s22, s0
	s_addc_u32 s1, s23, s1
	s_mul_i32 s23, s102, s8
	s_mul_i32 s27, s16, s14
	s_and_b32 s22, s0, 0x3ffffff
	s_lshr_b64 s[0:1], s[0:1], 26
	s_add_u32 s23, s27, s23
	s_mul_hi_u32 s27, s102, s8
	s_delay_alu instid0(SALU_CYCLE_1) | instskip(SKIP_1) | instid1(SALU_CYCLE_1)
	s_addc_u32 s27, s33, s27
	s_mul_i32 s33, s17, s12
	s_add_u32 s23, s23, s33
	s_mul_hi_u32 s33, s17, s12
	s_delay_alu instid0(SALU_CYCLE_1) | instskip(SKIP_1) | instid1(SALU_CYCLE_1)
	s_addc_u32 s27, s27, s33
	s_mul_i32 s33, s18, s10
	s_add_u32 s23, s23, s33
	s_addc_u32 s26, s27, s26
	s_add_u32 s6, s23, s6
	s_mul_i32 s23, s22, 0x3d10
	s_addc_u32 s7, s26, s7
	s_add_u32 s6, s6, s23
	s_mul_hi_u32 s23, s22, 0x3d10
	s_mul_hi_u32 s27, vcc_lo, s13
	s_addc_u32 s7, s7, s23
	s_add_u32 s2, s6, s2
	s_addc_u32 s3, s7, s3
	s_mul_hi_u32 s6, s18, s12
	s_mul_i32 s7, s19, s12
	s_mov_b32 s23, s25
	s_add_i32 s26, s6, s7
	s_lshl_b64 s[6:7], s[22:23], 10
	s_mul_i32 s22, s104, s52
	s_mul_i32 s23, vcc_lo, s13
	s_and_b32 s34, s2, 0x3ffffff
	s_lshr_b64 s[2:3], s[2:3], 26
	s_add_u32 s22, s23, s22
	s_mul_hi_u32 s23, s104, s52
	s_mul_hi_u32 s33, s103, s8
	s_addc_u32 s23, s27, s23
	s_mul_i32 s27, vcc_hi, s11
	s_delay_alu instid0(SALU_CYCLE_1) | instskip(SKIP_1) | instid1(SALU_CYCLE_1)
	s_add_u32 s22, s22, s27
	s_mul_hi_u32 s27, vcc_hi, s11
	s_addc_u32 s23, s23, s27
	s_mul_i32 s27, s4, s9
	s_delay_alu instid0(SALU_CYCLE_1) | instskip(SKIP_1) | instid1(SALU_CYCLE_1)
	s_add_u32 s22, s22, s27
	s_mul_hi_u32 s27, s4, s9
	s_addc_u32 s23, s23, s27
	s_mul_i32 s27, s5, s51
	s_delay_alu instid0(SALU_CYCLE_1) | instskip(SKIP_1) | instid1(SALU_CYCLE_1)
	s_add_u32 s22, s22, s27
	s_mul_hi_u32 s27, s5, s51
	s_addc_u32 s23, s23, s27
	s_add_u32 s0, s22, s0
	s_addc_u32 s1, s23, s1
	s_mul_i32 s23, s102, s10
	s_mul_i32 s27, s103, s8
	s_and_b32 s22, s0, 0x3ffffff
	s_lshr_b64 s[0:1], s[0:1], 26
	s_add_u32 s23, s27, s23
	s_mul_hi_u32 s27, s102, s10
	s_delay_alu instid0(SALU_CYCLE_1) | instskip(SKIP_1) | instid1(SALU_CYCLE_1)
	s_addc_u32 s27, s33, s27
	s_mul_i32 s33, s16, s15
	s_add_u32 s23, s23, s33
	s_mul_hi_u32 s33, s16, s15
	s_delay_alu instid0(SALU_CYCLE_1) | instskip(SKIP_1) | instid1(SALU_CYCLE_1)
	s_addc_u32 s27, s27, s33
	s_mul_i32 s33, s17, s14
	;; [unrolled: 5-line block ×3, first 2 shown]
	s_add_u32 s23, s23, s33
	s_addc_u32 s26, s27, s26
	s_add_u32 s6, s23, s6
	s_mul_i32 s23, s22, 0x3d10
	s_addc_u32 s7, s26, s7
	s_add_u32 s6, s6, s23
	s_mul_hi_u32 s23, s22, 0x3d10
	s_mul_hi_u32 s27, vcc_hi, s13
	s_addc_u32 s7, s7, s23
	s_add_u32 s2, s6, s2
	s_addc_u32 s3, s7, s3
	s_mul_hi_u32 s6, s18, s14
	s_mul_i32 s7, s19, s14
	s_mov_b32 s23, s25
	s_add_i32 s26, s6, s7
	s_lshl_b64 s[6:7], s[22:23], 10
	s_mul_i32 s22, vcc_lo, s52
	s_mul_i32 s23, vcc_hi, s13
	s_and_b32 s35, s2, 0x3ffffff
	s_lshr_b64 s[2:3], s[2:3], 26
	s_add_u32 s22, s23, s22
	s_mul_hi_u32 s23, vcc_lo, s52
	s_mul_hi_u32 s33, s103, s10
	s_addc_u32 s23, s27, s23
	s_mul_i32 s27, s4, s11
	s_delay_alu instid0(SALU_CYCLE_1) | instskip(SKIP_1) | instid1(SALU_CYCLE_1)
	s_add_u32 s22, s22, s27
	s_mul_hi_u32 s27, s4, s11
	s_addc_u32 s23, s23, s27
	s_mul_i32 s27, s5, s9
	s_delay_alu instid0(SALU_CYCLE_1) | instskip(SKIP_1) | instid1(SALU_CYCLE_1)
	s_add_u32 s22, s22, s27
	s_mul_hi_u32 s27, s5, s9
	s_addc_u32 s23, s23, s27
	s_add_u32 s0, s22, s0
	s_addc_u32 s1, s23, s1
	s_mul_i32 s23, s102, s12
	s_mul_i32 s27, s103, s10
	s_and_b32 s22, s0, 0x3ffffff
	s_lshr_b64 s[0:1], s[0:1], 26
	s_add_u32 s23, s27, s23
	s_mul_hi_u32 s27, s102, s12
	s_delay_alu instid0(SALU_CYCLE_1) | instskip(SKIP_1) | instid1(SALU_CYCLE_1)
	s_addc_u32 s27, s33, s27
	s_mul_i32 s33, s104, s8
	s_add_u32 s23, s23, s33
	s_mul_hi_u32 s33, s104, s8
	s_delay_alu instid0(SALU_CYCLE_1) | instskip(SKIP_1) | instid1(SALU_CYCLE_1)
	s_addc_u32 s27, s27, s33
	s_mul_i32 s33, s16, s51
	;; [unrolled: 5-line block ×4, first 2 shown]
	s_add_u32 s23, s23, s33
	s_addc_u32 s26, s27, s26
	s_add_u32 s6, s23, s6
	s_mul_i32 s23, s22, 0x3d10
	s_addc_u32 s7, s26, s7
	s_add_u32 s6, s6, s23
	s_mul_hi_u32 s23, s22, 0x3d10
	s_mul_hi_u32 s27, s4, s13
	s_addc_u32 s7, s7, s23
	s_add_u32 s2, s6, s2
	s_addc_u32 s3, s7, s3
	s_mul_hi_u32 s6, s18, s15
	s_mul_i32 s7, s19, s15
	s_mov_b32 s23, s25
	s_add_i32 s26, s6, s7
	s_lshl_b64 s[6:7], s[22:23], 10
	s_mul_i32 s22, vcc_hi, s52
	s_mul_i32 s23, s4, s13
	s_and_b32 s37, s2, 0x3ffffff
	s_lshr_b64 s[2:3], s[2:3], 26
	s_add_u32 s22, s23, s22
	s_mul_hi_u32 s23, vcc_hi, s52
	s_mul_hi_u32 s33, s103, s12
	s_addc_u32 s23, s27, s23
	s_mul_i32 s27, s5, s11
	s_delay_alu instid0(SALU_CYCLE_1) | instskip(SKIP_1) | instid1(SALU_CYCLE_1)
	s_add_u32 s22, s22, s27
	s_mul_hi_u32 s27, s5, s11
	s_addc_u32 s23, s23, s27
	s_add_u32 s0, s22, s0
	s_addc_u32 s1, s23, s1
	s_mul_i32 s23, s102, s14
	s_mul_i32 s27, s103, s12
	s_and_b32 s22, s0, 0x3ffffff
	s_lshr_b64 s[0:1], s[0:1], 26
	s_add_u32 s23, s27, s23
	s_mul_hi_u32 s27, s102, s14
	s_delay_alu instid0(SALU_CYCLE_1) | instskip(SKIP_1) | instid1(SALU_CYCLE_1)
	s_addc_u32 s27, s33, s27
	s_mul_i32 s33, s104, s10
	s_add_u32 s23, s23, s33
	s_mul_hi_u32 s33, s104, s10
	s_delay_alu instid0(SALU_CYCLE_1) | instskip(SKIP_1) | instid1(SALU_CYCLE_1)
	s_addc_u32 s27, s27, s33
	s_mul_i32 s33, vcc_lo, s8
	s_add_u32 s23, s23, s33
	s_mul_hi_u32 s33, vcc_lo, s8
	s_delay_alu instid0(SALU_CYCLE_1) | instskip(SKIP_1) | instid1(SALU_CYCLE_1)
	s_addc_u32 s27, s27, s33
	s_mul_i32 s33, s16, s9
	s_add_u32 s23, s23, s33
	s_mul_hi_u32 s33, s16, s9
	s_delay_alu instid0(SALU_CYCLE_1) | instskip(SKIP_1) | instid1(SALU_CYCLE_1)
	s_addc_u32 s27, s27, s33
	s_mul_i32 s33, s17, s51
	s_add_u32 s23, s23, s33
	s_mul_hi_u32 s33, s17, s51
	s_delay_alu instid0(SALU_CYCLE_1) | instskip(SKIP_1) | instid1(SALU_CYCLE_1)
	s_addc_u32 s27, s27, s33
	s_mul_i32 s33, s18, s15
	s_add_u32 s23, s23, s33
	s_addc_u32 s26, s27, s26
	s_add_u32 s6, s23, s6
	s_mul_i32 s23, s22, 0x3d10
	s_addc_u32 s7, s26, s7
	s_add_u32 s6, s6, s23
	s_mul_hi_u32 s23, s22, 0x3d10
	s_mul_hi_u32 s27, s5, s13
	s_addc_u32 s7, s7, s23
	s_add_u32 s2, s6, s2
	s_addc_u32 s3, s7, s3
	s_mul_hi_u32 s6, s18, s51
	s_mul_i32 s7, s19, s51
	s_mov_b32 s23, s25
	s_add_i32 s26, s6, s7
	s_lshl_b64 s[6:7], s[22:23], 10
	s_mul_i32 s22, s4, s52
	s_mul_i32 s23, s5, s13
	s_and_b32 s57, s2, 0x3ffffff
	s_lshr_b64 s[2:3], s[2:3], 26
	s_add_u32 s22, s23, s22
	s_mul_hi_u32 s23, s4, s52
	s_mul_i32 s19, s19, s9
	s_addc_u32 s23, s27, s23
	s_add_u32 s0, s22, s0
	s_addc_u32 s1, s23, s1
	s_and_b32 s22, s0, 0x3ffffff
	s_lshr_b64 s[58:59], s[0:1], 26
	s_mul_i32 s0, s102, s15
	s_mul_i32 s1, s103, s14
	s_mul_hi_u32 s23, s103, s14
	s_add_u32 s0, s1, s0
	s_mul_hi_u32 s1, s102, s15
	s_mul_hi_u32 s27, s103, s15
	s_addc_u32 s1, s23, s1
	s_mul_i32 s23, s104, s12
	s_mul_i32 s103, s103, s15
	s_add_u32 s0, s0, s23
	s_mul_hi_u32 s23, s104, s12
	s_mul_hi_u32 s15, s104, s14
	s_addc_u32 s1, s1, s23
	s_mul_i32 s23, vcc_lo, s10
	s_mul_i32 s104, s104, s14
	s_add_u32 s0, s0, s23
	s_mul_hi_u32 s23, vcc_lo, s10
	s_mul_hi_u32 s33, vcc_lo, s12
	s_addc_u32 s1, s1, s23
	s_mul_i32 s23, vcc_hi, s8
	s_mul_i32 vcc_lo, vcc_lo, s12
	s_add_u32 s0, s0, s23
	s_mul_hi_u32 s23, vcc_hi, s8
	s_mul_hi_u32 s12, vcc_hi, s10
	s_addc_u32 s1, s1, s23
	s_mul_i32 s23, s16, s11
	s_mul_i32 vcc_hi, vcc_hi, s10
	s_add_u32 s0, s0, s23
	s_mul_hi_u32 s23, s16, s11
	s_mul_hi_u32 s10, s4, s8
	s_addc_u32 s1, s1, s23
	s_mul_i32 s23, s17, s9
	s_mul_i32 s14, s4, s8
	s_add_u32 s0, s0, s23
	s_mul_hi_u32 s23, s17, s9
	s_mul_hi_u32 s8, s17, s11
	s_addc_u32 s1, s1, s23
	s_mul_i32 s23, s18, s51
	s_mul_i32 s17, s17, s11
	s_add_u32 s0, s0, s23
	s_addc_u32 s1, s1, s26
	s_add_u32 s0, s0, s6
	s_mul_i32 s6, s22, 0x3d10
	s_addc_u32 s1, s1, s7
	s_add_u32 s0, s0, s6
	s_mul_hi_u32 s6, s22, 0x3d10
	s_mov_b32 s23, s25
	s_addc_u32 s1, s1, s6
	s_add_u32 s0, s0, s2
	s_addc_u32 s1, s1, s3
	s_mul_hi_u32 s6, s5, s52
	s_mul_i32 s5, s5, s52
	s_mul_hi_u32 s52, s18, s9
	s_lshl_b64 s[2:3], s[22:23], 10
	s_add_i32 s52, s52, s19
	s_and_b32 s19, s0, 0x3ffffff
	s_lshr_b64 s[0:1], s[0:1], 26
	s_add_u32 s22, s58, s5
	s_addc_u32 s23, s59, s6
	s_mul_hi_u32 s26, s102, s51
	s_mul_i32 s102, s102, s51
	s_and_b32 s6, s22, 0x3ffffff
	s_lshr_b64 s[4:5], s[22:23], 26
	s_mul_i32 s18, s18, s9
	s_add_u32 s9, s103, s102
	s_addc_u32 s11, s27, s26
	s_add_u32 s9, s9, s104
	s_addc_u32 s11, s11, s15
	s_add_u32 s9, s9, vcc_lo
	s_addc_u32 s11, s11, s33
	s_add_u32 s9, s9, vcc_hi
	s_addc_u32 s11, s11, s12
	s_mul_hi_u32 s7, s16, s13
	s_mul_i32 s16, s16, s13
	s_add_u32 s9, s9, s14
	s_addc_u32 s10, s11, s10
	s_add_u32 s9, s9, s16
	s_addc_u32 s10, s10, s7
	;; [unrolled: 2-line block ×3, first 2 shown]
	v_alignbit_b32 v0, s23, s22, 26
	s_add_u32 s10, s9, s18
	s_addc_u32 s8, s8, s52
	s_add_u32 s2, s10, s2
	s_addc_u32 s3, s8, s3
	s_mul_i32 s8, s6, 0x3d10
	s_mul_hi_u32 s10, s6, 0x3d10
	s_add_u32 s2, s2, s8
	v_readfirstlane_b32 s8, v0
	s_addc_u32 s3, s3, s10
	s_add_u32 s0, s2, s0
	s_mov_b32 s7, s25
	s_addc_u32 s1, s3, s1
	s_mul_hi_u32 s10, s8, 0x3d10
	s_mulk_i32 s8, 0x3d10
	s_lshl_b64 s[2:3], s[6:7], 10
	s_and_b32 s6, s0, 0x3ffffff
	s_lshr_b64 s[0:1], s[0:1], 26
	s_add_u32 s7, s8, s28
	s_addc_u32 s8, s10, 0
	s_add_u32 s2, s7, s2
	s_addc_u32 s3, s8, s3
	;; [unrolled: 2-line block ×3, first 2 shown]
	s_lshl_b64 s[2:3], s[4:5], 14
	s_and_b32 s4, s0, 0x3fffff
	s_lshr_b64 s[0:1], s[0:1], 22
	v_readlane_b32 s15, v19, 22
	s_add_u32 s0, s0, s2
	s_addc_u32 s1, s1, s3
	s_mul_hi_u32 s2, s0, 0x3d1
	s_mul_i32 s5, s1, 0x3d1
	s_mul_i32 s3, s0, 0x3d1
	s_add_i32 s5, s2, s5
	s_add_u32 s2, s3, s29
	s_addc_u32 s3, s5, 0
	s_lshl_b64 s[0:1], s[0:1], 6
	s_and_b32 s5, s2, 0x3ffffff
	s_lshr_b64 s[2:3], s[2:3], 26
	s_add_u32 s0, s0, s30
	s_addc_u32 s1, s1, 0
	s_add_u32 s0, s0, s2
	s_addc_u32 s1, s1, s3
	s_lshl_b32 s14, s4, 1
	v_alignbit_b32 v0, s1, s0, 26
	s_lshl_b32 s7, s35, 1
	s_add_i32 s14, s14, s90
	s_add_i32 s7, s7, s68
	s_sub_i32 s14, s84, s14
	s_sub_i32 s7, s76, s7
	s_add_i32 s76, s14, 0x1fffff8
	s_sub_i32 s14, s4, s14
	v_readfirstlane_b32 s4, v0
	s_lshl_b32 s2, s5, 1
	s_lshl_b32 s3, s34, 1
	s_and_b32 s0, s0, 0x3ffffff
	s_lshl_b32 s8, s37, 1
	s_add_i32 s4, s4, s31
	s_lshl_b32 s12, s19, 1
	s_add_i32 s2, s2, s87
	s_add_i32 s3, s3, s67
	s_lshl_b32 s10, s57, 1
	s_lshl_b32 s13, s6, 1
	;; [unrolled: 1-line block ×4, first 2 shown]
	s_add_i32 s8, s8, s69
	s_add_i32 s12, s12, s77
	s_sub_i32 s2, s61, s2
	s_sub_i32 s3, s15, s3
	s_add_i32 s10, s10, s72
	s_add_i32 s13, s13, s86
	s_add_i32 s1, s1, s88
	s_add_i32 s16, s16, s89
	s_sub_i32 s8, s79, s8
	s_sub_i32 s12, s81, s12
	s_add_i32 s52, s2, 0x1fffe178
	s_sub_i32 s96, s5, s2
	s_sub_i32 s30, s34, s3
	;; [unrolled: 1-line block ×7, first 2 shown]
	s_add_i32 s79, s12, 0x1ffffff8
	s_sub_i32 s17, s37, s8
	s_sub_i32 s12, s19, s12
	s_add_i32 s30, s30, 0xffffffc
	s_add_i32 s19, s2, 0xffffffc
	;; [unrolled: 1-line block ×4, first 2 shown]
	s_sub_i32 s3, s57, s10
	s_sub_i32 s7, s6, s13
	;; [unrolled: 1-line block ×4, first 2 shown]
	s_add_i32 s51, s8, 0x1ffffff8
	s_add_i32 s17, s17, 0xffffffc
	s_mul_i32 s5, s30, s54
	s_mul_i32 s8, s19, s64
	s_add_i32 s98, s10, 0x1ffffff8
	s_add_i32 s80, s13, 0x1ffffff8
	;; [unrolled: 1-line block ×8, first 2 shown]
	s_mul_hi_u32 s3, s30, s54
	s_mul_hi_u32 s6, s19, s64
	s_add_i32 s31, s0, 0xffffefc
	s_add_i32 s85, s16, 0x1ffffff8
	;; [unrolled: 1-line block ×3, first 2 shown]
	s_mul_i32 s15, s17, s63
	s_add_u32 s0, s8, s5
	s_mul_hi_u32 s10, s17, s63
	s_addc_u32 s3, s6, s3
	s_mul_i32 s4, s13, s62
	s_add_u32 s0, s0, s15
	s_mul_hi_u32 s18, s13, s62
	s_addc_u32 s3, s3, s10
	;; [unrolled: 4-line block ×6, first 2 shown]
	s_add_u32 s0, s0, s2
	s_mul_i32 s2, s31, s65
	s_addc_u32 s1, s3, s1
	s_mul_hi_u32 s3, s31, s65
	s_add_u32 s0, s0, s2
	s_mul_i32 s2, s97, s55
	s_addc_u32 s1, s1, s3
	s_mul_hi_u32 s3, s97, s55
	s_add_u32 s0, s0, s2
	s_addc_u32 s1, s1, s3
	s_mul_i32 s15, s30, s55
	s_mul_i32 s2, s19, s54
	s_mul_hi_u32 s8, s30, s55
	s_mul_hi_u32 s10, s19, s54
	s_and_b32 s6, s0, 0x3ffffff
	s_lshr_b64 s[0:1], s[0:1], 26
	s_add_u32 s2, s2, s15
	s_mul_i32 s3, s17, s64
	s_addc_u32 s8, s10, s8
	s_mul_hi_u32 s10, s17, s64
	s_add_u32 s2, s2, s3
	s_mul_i32 s3, s13, s63
	s_addc_u32 s8, s8, s10
	s_mul_hi_u32 s10, s13, s63
	;; [unrolled: 4-line block ×5, first 2 shown]
	s_add_u32 s2, s2, s3
	s_addc_u32 s3, s8, s10
	s_mul_i32 s8, s31, s66
	s_mul_i32 s4, s96, s53
	s_add_u32 s2, s2, s8
	s_mul_hi_u32 s8, s31, s66
	s_mul_hi_u32 s5, s96, s53
	s_addc_u32 s3, s3, s8
	s_mul_i32 s8, s97, s65
	s_mov_b32 s11, s25
	s_add_u32 s2, s2, s8
	s_mul_hi_u32 s8, s97, s65
	s_mul_i32 s16, s19, s55
	s_addc_u32 s3, s3, s8
	s_add_u32 s0, s2, s0
	s_addc_u32 s1, s3, s1
	s_and_b32 s10, s0, 0x3ffffff
	s_lshr_b64 s[0:1], s[0:1], 26
	s_mul_i32 s2, s10, 0x3d10
	s_mul_hi_u32 s3, s10, 0x3d10
	s_add_u32 s2, s2, s4
	s_addc_u32 s3, s3, s5
	s_mul_i32 s8, s30, s65
	s_mul_hi_u32 s15, s30, s65
	s_lshl_b64 s[4:5], s[10:11], 10
	s_and_b32 s10, s2, 0x3ffffff
	s_lshr_b64 s[2:3], s[2:3], 26
	s_mul_hi_u32 s11, s19, s55
	s_add_u32 s8, s16, s8
	s_addc_u32 s11, s11, s15
	s_mul_i32 s15, s17, s54
	s_mul_i32 s16, s31, s53
	s_add_u32 s8, s8, s15
	s_mul_hi_u32 s15, s17, s54
	s_mov_b32 s9, s25
	s_addc_u32 s11, s11, s15
	s_mul_i32 s15, s13, s64
	s_mul_hi_u32 s18, s19, s65
	s_add_u32 s8, s8, s15
	s_mul_hi_u32 s15, s13, s64
	s_mov_b32 s23, s25
	s_addc_u32 s11, s11, s15
	s_mul_i32 s15, s12, s63
	s_mul_hi_u32 s26, s13, s71
	s_add_u32 s8, s8, s15
	s_mul_hi_u32 s15, s12, s63
	s_mul_i32 s27, s13, s71
	s_addc_u32 s11, s11, s15
	s_mul_i32 s15, s7, s62
	s_mul_i32 s33, s12, s70
	s_add_u32 s8, s8, s15
	s_mul_hi_u32 s15, s7, s62
	v_readlane_b32 s61, v20, 10
	s_addc_u32 s11, s11, s15
	s_mul_i32 s15, s14, s71
	s_delay_alu instid0(SALU_CYCLE_1) | instskip(SKIP_1) | instid1(SALU_CYCLE_1)
	s_add_u32 s8, s8, s15
	s_mul_hi_u32 s15, s14, s71
	s_addc_u32 s11, s11, s15
	s_mul_i32 s15, s97, s66
	s_delay_alu instid0(SALU_CYCLE_1) | instskip(SKIP_1) | instid1(SALU_CYCLE_1)
	s_add_u32 s8, s8, s15
	s_mul_hi_u32 s15, s97, s66
	s_addc_u32 s11, s11, s15
	s_add_u32 s0, s8, s0
	s_addc_u32 s1, s11, s1
	s_mul_i32 s15, s96, s70
	s_and_b32 s8, s0, 0x3ffffff
	s_lshr_b64 s[0:1], s[0:1], 26
	s_mul_hi_u32 s11, s96, s70
	s_add_u32 s15, s16, s15
	s_mul_hi_u32 s16, s31, s53
	s_delay_alu instid0(SALU_CYCLE_1)
	s_addc_u32 s11, s16, s11
	s_add_u32 s4, s15, s4
	s_addc_u32 s5, s11, s5
	s_add_u32 s2, s4, s2
	s_mul_i32 s4, s8, 0x3d10
	s_addc_u32 s3, s5, s3
	s_mul_hi_u32 s5, s8, 0x3d10
	s_add_u32 s2, s2, s4
	s_addc_u32 s3, s3, s5
	s_mul_i32 s11, s30, s66
	s_mul_i32 s15, s19, s65
	s_mul_hi_u32 s16, s30, s66
	s_lshl_b64 s[4:5], s[8:9], 10
	s_and_b32 s8, s2, 0x3ffffff
	s_lshr_b64 s[2:3], s[2:3], 26
	s_add_u32 s9, s15, s11
	s_mul_i32 s11, s17, s55
	s_addc_u32 s15, s18, s16
	s_mul_hi_u32 s16, s17, s55
	s_add_u32 s9, s9, s11
	s_mul_i32 s11, s13, s54
	s_addc_u32 s15, s15, s16
	s_mul_hi_u32 s16, s13, s54
	;; [unrolled: 4-line block ×5, first 2 shown]
	s_add_u32 s9, s9, s11
	s_addc_u32 s15, s15, s16
	s_add_u32 s0, s9, s0
	s_addc_u32 s1, s15, s1
	s_mul_i32 s11, s96, s71
	s_mul_i32 s9, s31, s70
	s_and_b32 s22, s0, 0x3ffffff
	s_lshr_b64 s[28:29], s[0:1], 26
	s_add_u32 s0, s9, s11
	s_mul_hi_u32 s1, s96, s71
	s_mul_hi_u32 s9, s31, s70
	s_mul_i32 s11, s30, s53
	s_addc_u32 s1, s9, s1
	s_mul_i32 s9, s97, s53
	s_mul_hi_u32 s15, s30, s53
	s_add_u32 s0, s0, s9
	s_mul_hi_u32 s9, s97, s53
	s_delay_alu instid0(SALU_CYCLE_1)
	s_addc_u32 s1, s1, s9
	s_add_u32 s0, s0, s4
	s_addc_u32 s1, s1, s5
	s_mul_i32 s5, s22, 0x3d10
	s_mul_i32 s9, s17, s65
	s_add_u32 s0, s0, s5
	s_mul_hi_u32 s5, s22, 0x3d10
	s_mul_hi_u32 s4, s19, s66
	s_addc_u32 s1, s1, s5
	s_add_u32 s0, s0, s2
	s_addc_u32 s1, s1, s3
	s_mul_i32 s5, s19, s66
	s_lshl_b64 s[2:3], s[22:23], 10
	s_and_b32 s37, s0, 0x3ffffff
	s_lshr_b64 s[0:1], s[0:1], 26
	s_add_u32 s5, s9, s5
	s_mul_hi_u32 s9, s17, s65
	s_delay_alu instid0(SALU_CYCLE_1) | instskip(SKIP_1) | instid1(SALU_CYCLE_1)
	s_addc_u32 s4, s9, s4
	s_mul_i32 s9, s13, s55
	s_add_u32 s5, s5, s9
	s_mul_hi_u32 s9, s13, s55
	s_delay_alu instid0(SALU_CYCLE_1) | instskip(SKIP_1) | instid1(SALU_CYCLE_1)
	s_addc_u32 s4, s4, s9
	s_mul_i32 s9, s12, s54
	;; [unrolled: 5-line block ×4, first 2 shown]
	s_add_u32 s5, s5, s9
	s_mul_hi_u32 s9, s14, s63
	s_delay_alu instid0(SALU_CYCLE_1)
	s_addc_u32 s9, s4, s9
	s_add_u32 s4, s5, s28
	s_addc_u32 s5, s9, s29
	s_mul_i32 s9, s96, s62
	s_and_b32 s22, s4, 0x3ffffff
	s_lshr_b64 s[4:5], s[4:5], 26
	s_add_u32 s9, s9, s11
	s_mul_hi_u32 s11, s96, s62
	s_delay_alu instid0(SALU_CYCLE_1) | instskip(SKIP_1) | instid1(SALU_CYCLE_1)
	s_addc_u32 s11, s11, s15
	s_mul_i32 s15, s31, s71
	s_add_u32 s9, s9, s15
	s_mul_hi_u32 s15, s31, s71
	s_delay_alu instid0(SALU_CYCLE_1) | instskip(SKIP_1) | instid1(SALU_CYCLE_1)
	s_addc_u32 s11, s11, s15
	s_mul_i32 s15, s97, s70
	s_add_u32 s9, s9, s15
	s_mul_hi_u32 s15, s97, s70
	s_delay_alu instid0(SALU_CYCLE_1)
	s_addc_u32 s11, s11, s15
	s_add_u32 s2, s9, s2
	s_mul_i32 s9, s22, 0x3d10
	s_addc_u32 s3, s11, s3
	s_add_u32 s2, s2, s9
	s_mul_hi_u32 s9, s22, 0x3d10
	s_mul_i32 s11, s13, s65
	s_addc_u32 s3, s3, s9
	s_add_u32 s0, s2, s0
	s_addc_u32 s1, s3, s1
	s_mul_i32 s9, s17, s66
	s_lshl_b64 s[2:3], s[22:23], 10
	s_and_b32 s93, s0, 0x3ffffff
	s_lshr_b64 s[0:1], s[0:1], 26
	s_add_u32 s9, s11, s9
	s_mul_hi_u32 s11, s17, s66
	s_mul_hi_u32 s15, s13, s65
	s_delay_alu instid0(SALU_CYCLE_1) | instskip(SKIP_1) | instid1(SALU_CYCLE_1)
	s_addc_u32 s11, s15, s11
	s_mul_i32 s15, s12, s55
	s_add_u32 s9, s9, s15
	s_mul_hi_u32 s15, s12, s55
	s_delay_alu instid0(SALU_CYCLE_1) | instskip(SKIP_1) | instid1(SALU_CYCLE_1)
	s_addc_u32 s11, s11, s15
	s_mul_i32 s15, s7, s54
	s_add_u32 s9, s9, s15
	;; [unrolled: 5-line block ×3, first 2 shown]
	s_mul_hi_u32 s15, s14, s64
	s_delay_alu instid0(SALU_CYCLE_1)
	s_addc_u32 s11, s11, s15
	s_add_u32 s4, s9, s4
	s_addc_u32 s5, s11, s5
	s_mul_i32 s9, s30, s70
	s_mul_i32 s11, s19, s53
	s_and_b32 s22, s4, 0x3ffffff
	s_lshr_b64 s[4:5], s[4:5], 26
	s_add_u32 s9, s11, s9
	s_mul_hi_u32 s11, s30, s70
	s_mul_hi_u32 s15, s19, s53
	s_delay_alu instid0(SALU_CYCLE_1) | instskip(SKIP_1) | instid1(SALU_CYCLE_1)
	s_addc_u32 s11, s15, s11
	s_mul_i32 s15, s96, s63
	s_add_u32 s9, s9, s15
	s_mul_hi_u32 s15, s96, s63
	s_delay_alu instid0(SALU_CYCLE_1) | instskip(SKIP_1) | instid1(SALU_CYCLE_1)
	s_addc_u32 s11, s11, s15
	s_mul_i32 s15, s31, s62
	s_add_u32 s9, s9, s15
	;; [unrolled: 5-line block ×3, first 2 shown]
	s_mul_hi_u32 s15, s97, s71
	s_delay_alu instid0(SALU_CYCLE_1)
	s_addc_u32 s11, s11, s15
	s_add_u32 s2, s9, s2
	s_mul_i32 s9, s22, 0x3d10
	s_addc_u32 s3, s11, s3
	s_add_u32 s2, s2, s9
	s_mul_hi_u32 s9, s22, 0x3d10
	s_mul_i32 s11, s12, s65
	s_addc_u32 s3, s3, s9
	s_add_u32 s0, s2, s0
	s_addc_u32 s1, s3, s1
	s_mul_i32 s9, s13, s66
	s_lshl_b64 s[2:3], s[22:23], 10
	s_and_b32 s56, s0, 0x3ffffff
	s_lshr_b64 s[0:1], s[0:1], 26
	s_add_u32 s9, s11, s9
	s_mul_hi_u32 s11, s13, s66
	s_mul_hi_u32 s15, s12, s65
	s_delay_alu instid0(SALU_CYCLE_1) | instskip(SKIP_1) | instid1(SALU_CYCLE_1)
	s_addc_u32 s11, s15, s11
	s_mul_i32 s15, s7, s55
	s_add_u32 s9, s9, s15
	s_mul_hi_u32 s15, s7, s55
	s_delay_alu instid0(SALU_CYCLE_1) | instskip(SKIP_1) | instid1(SALU_CYCLE_1)
	s_addc_u32 s11, s11, s15
	s_mul_i32 s15, s14, s54
	s_add_u32 s9, s9, s15
	s_mul_hi_u32 s15, s14, s54
	s_delay_alu instid0(SALU_CYCLE_1)
	s_addc_u32 s11, s11, s15
	s_add_u32 s4, s9, s4
	s_addc_u32 s5, s11, s5
	s_mul_i32 s9, s30, s71
	s_mul_i32 s11, s19, s70
	s_and_b32 s22, s4, 0x3ffffff
	s_lshr_b64 s[4:5], s[4:5], 26
	s_add_u32 s9, s11, s9
	s_mul_hi_u32 s11, s30, s71
	s_mul_hi_u32 s15, s19, s70
	s_delay_alu instid0(SALU_CYCLE_1) | instskip(SKIP_1) | instid1(SALU_CYCLE_1)
	s_addc_u32 s11, s15, s11
	s_mul_i32 s15, s17, s53
	s_add_u32 s9, s9, s15
	s_mul_hi_u32 s15, s17, s53
	s_delay_alu instid0(SALU_CYCLE_1) | instskip(SKIP_1) | instid1(SALU_CYCLE_1)
	s_addc_u32 s11, s11, s15
	s_mul_i32 s15, s96, s64
	s_add_u32 s9, s9, s15
	;; [unrolled: 5-line block ×4, first 2 shown]
	s_mul_hi_u32 s15, s97, s62
	s_delay_alu instid0(SALU_CYCLE_1)
	s_addc_u32 s11, s11, s15
	s_add_u32 s2, s9, s2
	s_mul_i32 s9, s22, 0x3d10
	s_addc_u32 s3, s11, s3
	s_add_u32 s2, s2, s9
	s_mul_hi_u32 s9, s22, 0x3d10
	s_mul_i32 s11, s7, s65
	s_addc_u32 s3, s3, s9
	s_add_u32 s0, s2, s0
	s_addc_u32 s1, s3, s1
	s_mul_i32 s9, s12, s66
	s_lshl_b64 s[2:3], s[22:23], 10
	s_and_b32 s95, s0, 0x3ffffff
	s_lshr_b64 s[0:1], s[0:1], 26
	s_add_u32 s9, s11, s9
	s_mul_hi_u32 s11, s12, s66
	s_mul_hi_u32 s15, s7, s65
	s_delay_alu instid0(SALU_CYCLE_1) | instskip(SKIP_1) | instid1(SALU_CYCLE_1)
	s_addc_u32 s11, s15, s11
	s_mul_i32 s15, s14, s55
	s_add_u32 s9, s9, s15
	s_mul_hi_u32 s15, s14, s55
	s_delay_alu instid0(SALU_CYCLE_1)
	s_addc_u32 s11, s11, s15
	s_add_u32 s4, s9, s4
	s_addc_u32 s5, s11, s5
	s_and_b32 s22, s4, 0x3ffffff
	s_lshr_b64 s[28:29], s[4:5], 26
	s_mul_i32 s4, s30, s62
	s_mul_i32 s5, s19, s71
	s_mul_hi_u32 s9, s19, s71
	s_add_u32 s4, s5, s4
	s_mul_hi_u32 s5, s30, s62
	s_mul_hi_u32 s11, s19, s62
	s_addc_u32 s5, s9, s5
	s_mul_i32 s9, s17, s70
	s_delay_alu instid0(SALU_CYCLE_1) | instskip(SKIP_1) | instid1(SALU_CYCLE_1)
	s_add_u32 s4, s4, s9
	s_mul_hi_u32 s9, s17, s70
	s_addc_u32 s5, s5, s9
	s_mul_i32 s9, s13, s53
	s_delay_alu instid0(SALU_CYCLE_1) | instskip(SKIP_1) | instid1(SALU_CYCLE_1)
	s_add_u32 s4, s4, s9
	;; [unrolled: 5-line block ×5, first 2 shown]
	s_mul_hi_u32 s9, s97, s63
	s_addc_u32 s5, s5, s9
	s_add_u32 s2, s4, s2
	s_mul_i32 s4, s22, 0x3d10
	s_addc_u32 s3, s5, s3
	s_add_u32 s2, s2, s4
	s_mul_hi_u32 s4, s22, 0x3d10
	s_mul_i32 s9, s19, s62
	s_addc_u32 s3, s3, s4
	s_add_u32 s0, s2, s0
	s_addc_u32 s1, s3, s1
	s_and_b32 s16, s0, 0x3ffffff
	s_lshr_b64 s[4:5], s[0:1], 26
	s_mul_i32 s0, s7, s66
	s_mul_i32 s1, s14, s65
	s_lshl_b64 s[22:23], s[22:23], 10
	s_add_u32 s0, s1, s0
	s_mul_hi_u32 s1, s7, s66
	s_mul_hi_u32 s2, s14, s65
	s_mul_i32 s3, s30, s63
	s_addc_u32 s1, s2, s1
	s_add_u32 s0, s0, s28
	s_addc_u32 s1, s1, s29
	s_and_b32 s2, s0, 0x3ffffff
	s_lshr_b64 s[0:1], s[0:1], 26
	s_add_u32 s3, s9, s3
	s_mul_hi_u32 s9, s30, s63
	s_delay_alu instid0(SALU_CYCLE_1) | instskip(SKIP_1) | instid1(SALU_CYCLE_1)
	s_addc_u32 s9, s11, s9
	s_mul_i32 s11, s17, s71
	s_add_u32 s3, s3, s11
	s_mul_hi_u32 s11, s17, s71
	s_mul_hi_u32 s71, s91, s61
	s_addc_u32 s9, s9, s11
	s_mul_i32 s11, s13, s70
	s_delay_alu instid0(SALU_CYCLE_1) | instskip(SKIP_1) | instid1(SALU_CYCLE_1)
	s_add_u32 s3, s3, s11
	s_mul_hi_u32 s11, s13, s70
	s_addc_u32 s9, s9, s11
	s_mul_i32 s11, s12, s53
	s_delay_alu instid0(SALU_CYCLE_1) | instskip(SKIP_1) | instid1(SALU_CYCLE_1)
	s_add_u32 s3, s3, s11
	;; [unrolled: 5-line block ×5, first 2 shown]
	s_mul_hi_u32 s11, s97, s64
	s_addc_u32 s9, s9, s11
	s_add_u32 s3, s3, s22
	s_mul_i32 s11, s2, 0x3d10
	s_addc_u32 s9, s9, s23
	s_add_u32 s3, s3, s11
	s_mul_hi_u32 s11, s2, 0x3d10
	s_mul_hi_u32 s22, s19, s63
	s_addc_u32 s9, s9, s11
	s_add_u32 s4, s3, s4
	s_addc_u32 s5, s9, s5
	s_mov_b32 s3, s25
	s_mul_hi_u32 s9, s14, s66
	s_mul_i32 s14, s14, s66
	s_lshl_b64 s[34:35], s[2:3], 10
	s_and_b32 s18, s4, 0x3ffffff
	s_lshr_b64 s[28:29], s[4:5], 26
	s_add_u32 s14, s0, s14
	s_addc_u32 s15, s1, s9
	s_mul_i32 s11, s30, s64
	s_mul_i32 s19, s19, s63
	s_mul_hi_u32 s9, s30, s64
	s_mul_hi_u32 s5, s12, s70
	s_and_b32 s30, s14, 0x3ffffff
	s_lshr_b64 s[12:13], s[14:15], 26
	s_mul_hi_u32 s23, s17, s62
	s_mul_i32 s17, s17, s62
	s_add_u32 s11, s19, s11
	s_addc_u32 s9, s22, s9
	s_add_u32 s11, s11, s17
	s_addc_u32 s9, s9, s23
	;; [unrolled: 2-line block ×3, first 2 shown]
	s_mul_hi_u32 s4, s7, s53
	s_mul_i32 s7, s7, s53
	s_add_u32 s19, s19, s33
	s_addc_u32 s5, s9, s5
	s_mul_hi_u32 s2, s96, s65
	s_mul_i32 s96, s96, s65
	s_add_u32 s7, s19, s7
	s_addc_u32 s4, s5, s4
	s_mul_i32 s3, s31, s55
	s_add_u32 s19, s7, s96
	s_mul_hi_u32 s1, s31, s55
	s_addc_u32 s2, s4, s2
	s_mul_hi_u32 s0, s97, s54
	s_mul_i32 s97, s97, s54
	s_add_u32 s4, s19, s3
	s_addc_u32 s1, s2, s1
	s_add_u32 s2, s4, s97
	s_addc_u32 s0, s1, s0
	s_add_u32 s2, s2, s34
	s_mul_i32 s19, s30, 0x3d10
	s_addc_u32 s0, s0, s35
	v_alignbit_b32 v0, s15, s14, 26
	s_add_u32 s2, s2, s19
	s_mul_hi_u32 s19, s30, 0x3d10
	s_mov_b32 s31, s25
	s_addc_u32 s0, s0, s19
	s_add_u32 s22, s2, s28
	s_addc_u32 s23, s0, s29
	v_readfirstlane_b32 s0, v0
	s_lshr_b32 s2, s15, 26
	s_lshl_b64 s[14:15], s[30:31], 10
	s_mulk_i32 s2, 0x3d10
	s_and_b32 s19, s22, 0x3ffffff
	s_mul_i32 s28, s0, 0x3d10
	s_mul_hi_u32 s0, s0, 0x3d10
	s_lshr_b64 s[22:23], s[22:23], 26
	s_add_i32 s0, s0, s2
	s_add_u32 s2, s28, s6
	s_addc_u32 s0, s0, 0
	s_add_u32 s2, s2, s14
	s_addc_u32 s15, s0, s15
	;; [unrolled: 2-line block ×3, first 2 shown]
	s_lshl_b64 s[12:13], s[12:13], 14
	s_and_b32 s28, s14, 0x3fffff
	s_lshr_b64 s[14:15], s[14:15], 22
	s_mul_i32 s26, s67, s94
	s_add_u32 s12, s14, s12
	s_addc_u32 s13, s15, s13
	s_mul_hi_u32 s14, s12, 0x3d1
	s_mul_i32 s15, s13, 0x3d1
	s_mul_hi_u32 s4, s67, s94
	s_add_i32 s15, s14, s15
	s_mul_i32 s14, s12, 0x3d1
	s_mul_hi_u32 s22, s68, s50
	s_add_u32 s14, s14, s10
	s_addc_u32 s15, s15, 0
	s_lshl_b64 s[12:13], s[12:13], 6
	s_and_b32 s59, s14, 0x3ffffff
	s_lshr_b64 s[14:15], s[14:15], 26
	s_add_u32 s8, s12, s8
	s_addc_u32 s10, s13, 0
	s_add_u32 s8, s8, s14
	s_addc_u32 s10, s10, s15
	s_mul_hi_u32 s13, s89, s39
	v_alignbit_b32 v0, s10, s8, 26
	s_mul_i32 s14, s92, s39
	s_mul_i32 s12, s68, s50
	s_add_i32 s13, s13, s14
	s_and_b32 s58, s8, 0x3ffffff
	v_readfirstlane_b32 s57, v0
	s_mul_i32 s6, s67, s39
	s_mul_i32 s10, s68, s94
	s_mul_hi_u32 s27, s67, s39
	s_mul_hi_u32 s14, s68, s94
	s_add_i32 s57, s57, s37
	s_add_u32 s8, s12, s26
	s_mul_i32 s12, s69, s49
	s_addc_u32 s4, s22, s4
	s_add_u32 s8, s8, s12
	s_mul_hi_u32 s12, s69, s49
	s_mul_hi_u32 s15, s87, s78
	s_addc_u32 s4, s4, s12
	s_mul_i32 s12, s72, s48
	s_mov_b32 s11, s25
	s_add_u32 s8, s8, s12
	s_mul_hi_u32 s12, s72, s48
	s_mul_i32 s2, s67, s47
	s_addc_u32 s4, s4, s12
	s_mul_i32 s12, s77, s46
	s_mul_i32 s26, s68, s39
	s_add_u32 s8, s8, s12
	s_mul_hi_u32 s12, s77, s46
	s_mul_hi_u32 s0, s67, s47
	s_addc_u32 s4, s4, s12
	s_mul_i32 s12, s86, s38
	s_mov_b32 s9, s25
	s_add_u32 s8, s8, s12
	s_mul_hi_u32 s12, s86, s38
	s_mov_b32 s5, s25
	s_addc_u32 s4, s4, s12
	s_mul_i32 s12, s90, s78
	s_mov_b32 s7, s25
	s_add_u32 s8, s8, s12
	s_mul_hi_u32 s12, s90, s78
	s_mov_b32 s3, s25
	s_addc_u32 s4, s4, s12
	s_mul_i32 s12, s87, s36
	s_mov_b32 s1, s25
	s_add_u32 s8, s8, s12
	s_mul_hi_u32 s12, s87, s36
	v_readlane_b32 s53, v20, 11
	s_addc_u32 s4, s4, s12
	s_mul_i32 s12, s88, s47
	v_readlane_b32 s54, v20, 12
	s_add_u32 s8, s8, s12
	s_mul_hi_u32 s12, s88, s47
	v_readlane_b32 s55, v20, 13
	s_addc_u32 s4, s4, s12
	s_mul_i32 s12, s89, s39
	v_readlane_b32 s17, v20, 14
	s_add_u32 s12, s8, s12
	s_addc_u32 s13, s4, s13
	s_mul_hi_u32 s4, s89, s47
	s_mul_i32 s8, s92, s47
	s_and_b32 s60, s12, 0x3ffffff
	s_add_i32 s4, s4, s8
	s_lshr_b64 s[12:13], s[12:13], 26
	s_add_u32 s6, s10, s6
	s_addc_u32 s10, s14, s27
	s_mul_i32 s14, s69, s50
	s_mul_hi_u32 s8, s68, s39
	s_add_u32 s6, s6, s14
	s_mul_hi_u32 s14, s69, s50
	s_mul_hi_u32 s27, s88, s39
	s_addc_u32 s10, s10, s14
	s_mul_i32 s14, s72, s49
	s_mul_i32 s70, s91, s44
	s_add_u32 s6, s6, s14
	s_mul_hi_u32 s14, s72, s49
	s_mul_i32 s66, s91, s21
	s_addc_u32 s10, s10, s14
	s_mul_i32 s14, s77, s48
	s_mov_b32 s29, s25
	s_add_u32 s6, s6, s14
	s_mul_hi_u32 s14, s77, s48
	s_delay_alu instid0(SALU_CYCLE_1) | instskip(SKIP_1) | instid1(SALU_CYCLE_1)
	s_addc_u32 s10, s10, s14
	s_mul_i32 s14, s86, s46
	s_add_u32 s6, s6, s14
	s_mul_hi_u32 s14, s86, s46
	s_delay_alu instid0(SALU_CYCLE_1) | instskip(SKIP_1) | instid1(SALU_CYCLE_1)
	s_addc_u32 s10, s10, s14
	s_mul_i32 s14, s90, s38
	;; [unrolled: 5-line block ×4, first 2 shown]
	s_add_u32 s6, s6, s14
	s_addc_u32 s4, s10, s4
	s_add_u32 s12, s6, s12
	s_addc_u32 s13, s4, s13
	s_and_b32 s10, s12, 0x3ffffff
	s_mul_i32 s4, s87, s78
	s_mul_i32 s6, s10, 0x3d10
	s_lshr_b64 s[12:13], s[12:13], 26
	s_mul_hi_u32 s22, s10, 0x3d10
	s_add_u32 s14, s6, s4
	s_addc_u32 s15, s22, s15
	s_mul_hi_u32 s4, s89, s36
	s_mul_i32 s6, s92, s36
	s_lshl_b64 s[22:23], s[10:11], 10
	s_add_i32 s4, s4, s6
	s_and_b32 s62, s14, 0x3ffffff
	s_lshr_b64 s[14:15], s[14:15], 26
	s_add_u32 s2, s26, s2
	s_mul_i32 s6, s69, s94
	s_addc_u32 s0, s8, s0
	s_mul_hi_u32 s8, s69, s94
	s_add_u32 s2, s2, s6
	s_mul_i32 s6, s72, s50
	s_addc_u32 s0, s0, s8
	s_mul_hi_u32 s8, s72, s50
	;; [unrolled: 4-line block ×5, first 2 shown]
	s_add_u32 s2, s2, s6
	s_mul_i32 s6, s89, s36
	s_addc_u32 s0, s0, s8
	s_add_u32 s2, s2, s6
	s_addc_u32 s0, s0, s4
	s_add_u32 s12, s2, s12
	s_addc_u32 s13, s0, s13
	s_mul_i32 s2, s87, s38
	s_mul_i32 s4, s88, s78
	s_and_b32 s8, s12, 0x3ffffff
	s_lshr_b64 s[30:31], s[12:13], 26
	s_mul_hi_u32 s0, s87, s38
	s_add_u32 s2, s4, s2
	s_mul_hi_u32 s4, s88, s78
	s_mul_i32 s12, s8, 0x3d10
	s_addc_u32 s0, s4, s0
	s_add_u32 s2, s2, s22
	s_addc_u32 s0, s0, s23
	s_add_u32 s2, s2, s14
	s_addc_u32 s0, s0, s15
	s_mul_hi_u32 s13, s8, 0x3d10
	s_add_u32 s14, s2, s12
	s_addc_u32 s15, s0, s13
	s_mul_hi_u32 s0, s89, s78
	s_mul_i32 s2, s92, s78
	s_mul_i32 s6, s67, s36
	;; [unrolled: 1-line block ×3, first 2 shown]
	s_lshl_b64 s[12:13], s[8:9], 10
	s_add_i32 s0, s0, s2
	s_and_b32 s63, s14, 0x3ffffff
	s_lshr_b64 s[8:9], s[14:15], 26
	s_mul_hi_u32 s4, s67, s36
	s_add_u32 s2, s10, s6
	s_mul_hi_u32 s6, s68, s47
	s_mul_i32 s10, s88, s38
	s_addc_u32 s4, s6, s4
	s_mul_i32 s6, s69, s39
	s_mul_i32 s23, s92, s38
	s_add_u32 s2, s2, s6
	s_mul_hi_u32 s6, s69, s39
	s_mul_i32 s22, s68, s36
	s_addc_u32 s4, s4, s6
	s_mul_i32 s6, s72, s94
	s_delay_alu instid0(SALU_CYCLE_1) | instskip(SKIP_1) | instid1(SALU_CYCLE_1)
	s_add_u32 s2, s2, s6
	s_mul_hi_u32 s6, s72, s94
	s_addc_u32 s4, s4, s6
	s_mul_i32 s6, s77, s50
	s_delay_alu instid0(SALU_CYCLE_1) | instskip(SKIP_1) | instid1(SALU_CYCLE_1)
	s_add_u32 s2, s2, s6
	s_mul_hi_u32 s6, s77, s50
	;; [unrolled: 5-line block ×4, first 2 shown]
	s_addc_u32 s4, s4, s6
	s_add_u32 s14, s2, s30
	s_addc_u32 s15, s4, s31
	s_mul_i32 s6, s87, s46
	s_and_b32 s4, s14, 0x3ffffff
	s_lshr_b64 s[14:15], s[14:15], 26
	s_mul_hi_u32 s2, s87, s46
	s_add_u32 s6, s10, s6
	s_mul_hi_u32 s10, s88, s38
	s_mov_b32 s31, s25
	s_addc_u32 s2, s10, s2
	s_mul_i32 s10, s89, s78
	s_delay_alu instid0(SALU_CYCLE_1)
	s_add_u32 s6, s6, s10
	s_addc_u32 s0, s2, s0
	s_add_u32 s6, s6, s12
	s_mul_i32 s12, s4, 0x3d10
	s_addc_u32 s0, s0, s13
	s_add_u32 s6, s6, s12
	s_mul_hi_u32 s12, s4, 0x3d10
	s_mul_hi_u32 s2, s68, s36
	s_addc_u32 s0, s0, s12
	s_add_u32 s8, s6, s8
	s_addc_u32 s9, s0, s9
	s_mul_hi_u32 s6, s89, s38
	s_mul_i32 s0, s69, s47
	s_lshl_b64 s[12:13], s[4:5], 10
	s_add_i32 s26, s6, s23
	s_and_b32 s64, s8, 0x3ffffff
	s_lshr_b64 s[8:9], s[8:9], 26
	s_mul_hi_u32 s4, s69, s47
	s_add_u32 s0, s0, s22
	s_addc_u32 s2, s4, s2
	s_mul_i32 s4, s72, s39
	s_mul_hi_u32 s10, s67, s78
	s_add_u32 s0, s0, s4
	s_mul_hi_u32 s4, s72, s39
	s_delay_alu instid0(SALU_CYCLE_1) | instskip(SKIP_1) | instid1(SALU_CYCLE_1)
	s_addc_u32 s2, s2, s4
	s_mul_i32 s4, s77, s94
	s_add_u32 s0, s0, s4
	s_mul_hi_u32 s4, s77, s94
	s_delay_alu instid0(SALU_CYCLE_1) | instskip(SKIP_1) | instid1(SALU_CYCLE_1)
	s_addc_u32 s2, s2, s4
	s_mul_i32 s4, s86, s50
	;; [unrolled: 5-line block ×3, first 2 shown]
	s_add_u32 s0, s0, s4
	s_mul_hi_u32 s4, s90, s49
	s_delay_alu instid0(SALU_CYCLE_1)
	s_addc_u32 s2, s2, s4
	s_add_u32 s4, s0, s14
	s_addc_u32 s5, s2, s15
	s_mul_i32 s0, s67, s78
	s_mul_i32 s2, s87, s48
	s_mul_hi_u32 s14, s87, s48
	s_and_b32 s6, s4, 0x3ffffff
	s_lshr_b64 s[22:23], s[4:5], 26
	s_add_u32 s0, s2, s0
	s_mul_i32 s2, s88, s46
	s_addc_u32 s4, s14, s10
	s_mul_hi_u32 s5, s88, s46
	s_add_u32 s0, s0, s2
	s_mul_i32 s2, s89, s38
	s_addc_u32 s4, s4, s5
	s_add_u32 s0, s0, s2
	s_addc_u32 s2, s4, s26
	s_add_u32 s0, s0, s12
	s_mul_i32 s12, s6, 0x3d10
	s_addc_u32 s2, s2, s13
	s_add_u32 s0, s0, s12
	s_mul_hi_u32 s12, s6, 0x3d10
	s_mul_i32 s14, s92, s46
	s_addc_u32 s2, s2, s12
	s_add_u32 s8, s0, s8
	s_addc_u32 s9, s2, s9
	s_mul_hi_u32 s2, s89, s46
	s_mul_i32 s10, s69, s36
	s_mul_i32 s0, s72, s47
	s_mul_hi_u32 s4, s69, s36
	s_lshl_b64 s[12:13], s[6:7], 10
	s_add_i32 s15, s2, s14
	s_and_b32 s14, s8, 0x3ffffff
	s_lshr_b64 s[6:7], s[8:9], 26
	s_mul_hi_u32 s2, s72, s47
	s_add_u32 s0, s0, s10
	s_addc_u32 s2, s2, s4
	s_mul_i32 s4, s77, s39
	s_mul_i32 s10, s68, s78
	s_add_u32 s0, s0, s4
	s_mul_hi_u32 s4, s77, s39
	s_mov_b32 s5, s25
	s_addc_u32 s2, s2, s4
	s_mul_i32 s4, s86, s94
	s_mul_hi_u32 s26, s87, s47
	s_add_u32 s0, s0, s4
	s_mul_hi_u32 s4, s86, s94
	s_delay_alu instid0(SALU_CYCLE_1) | instskip(SKIP_1) | instid1(SALU_CYCLE_1)
	s_addc_u32 s2, s2, s4
	s_mul_i32 s4, s90, s50
	s_add_u32 s0, s0, s4
	s_mul_hi_u32 s4, s90, s50
	s_delay_alu instid0(SALU_CYCLE_1)
	s_addc_u32 s2, s2, s4
	s_add_u32 s8, s0, s22
	s_addc_u32 s9, s2, s23
	s_mul_i32 s4, s67, s38
	s_and_b32 s2, s8, 0x3ffffff
	s_lshr_b64 s[8:9], s[8:9], 26
	s_mul_hi_u32 s0, s67, s38
	s_add_u32 s4, s10, s4
	s_mul_hi_u32 s10, s68, s78
	s_mul_hi_u32 s22, s68, s38
	s_addc_u32 s0, s10, s0
	s_mul_i32 s10, s87, s49
	s_mul_hi_u32 s23, s86, s78
	s_add_u32 s4, s4, s10
	s_mul_hi_u32 s10, s87, s49
	s_delay_alu instid0(SALU_CYCLE_1) | instskip(SKIP_1) | instid1(SALU_CYCLE_1)
	s_addc_u32 s0, s0, s10
	s_mul_i32 s10, s88, s48
	s_add_u32 s4, s4, s10
	s_mul_hi_u32 s10, s88, s48
	s_delay_alu instid0(SALU_CYCLE_1) | instskip(SKIP_1) | instid1(SALU_CYCLE_1)
	s_addc_u32 s0, s0, s10
	s_mul_i32 s10, s89, s46
	s_add_u32 s4, s4, s10
	s_addc_u32 s0, s0, s15
	s_add_u32 s4, s4, s12
	s_mul_i32 s12, s2, 0x3d10
	s_addc_u32 s0, s0, s13
	s_add_u32 s4, s4, s12
	s_mul_hi_u32 s12, s2, 0x3d10
	s_mul_i32 s13, s72, s36
	s_addc_u32 s0, s0, s12
	s_add_u32 s6, s4, s6
	s_addc_u32 s7, s0, s7
	s_mul_hi_u32 s4, s89, s48
	s_mul_i32 s12, s92, s48
	s_mul_i32 s0, s77, s47
	s_lshl_b64 s[2:3], s[2:3], 10
	s_add_i32 s4, s4, s12
	s_and_b32 s12, s6, 0x3ffffff
	s_lshr_b64 s[6:7], s[6:7], 26
	s_mul_hi_u32 s15, s72, s36
	s_add_u32 s0, s0, s13
	s_mul_hi_u32 s13, s77, s47
	s_mul_hi_u32 s10, s67, s46
	s_addc_u32 s13, s13, s15
	s_mul_i32 s15, s86, s39
	s_delay_alu instid0(SALU_CYCLE_1) | instskip(SKIP_1) | instid1(SALU_CYCLE_1)
	s_add_u32 s0, s0, s15
	s_mul_hi_u32 s15, s86, s39
	s_addc_u32 s13, s13, s15
	s_mul_i32 s15, s90, s94
	s_delay_alu instid0(SALU_CYCLE_1) | instskip(SKIP_1) | instid1(SALU_CYCLE_1)
	s_add_u32 s0, s0, s15
	s_mul_hi_u32 s15, s90, s94
	s_addc_u32 s13, s13, s15
	s_add_u32 s8, s0, s8
	s_addc_u32 s9, s13, s9
	s_mul_i32 s13, s67, s46
	s_mul_i32 s15, s68, s38
	s_and_b32 s0, s8, 0x3ffffff
	s_lshr_b64 s[8:9], s[8:9], 26
	s_add_u32 s13, s15, s13
	s_mul_i32 s15, s69, s78
	s_addc_u32 s10, s22, s10
	s_mul_hi_u32 s22, s69, s78
	s_add_u32 s13, s13, s15
	s_mul_i32 s15, s87, s50
	s_addc_u32 s10, s10, s22
	s_mul_hi_u32 s22, s87, s50
	;; [unrolled: 4-line block ×3, first 2 shown]
	s_add_u32 s13, s13, s15
	s_mul_i32 s15, s89, s48
	s_addc_u32 s10, s10, s22
	s_add_u32 s13, s13, s15
	s_addc_u32 s4, s10, s4
	s_add_u32 s2, s13, s2
	s_mul_i32 s13, s0, 0x3d10
	s_addc_u32 s3, s4, s3
	s_add_u32 s2, s2, s13
	s_mul_hi_u32 s13, s0, 0x3d10
	s_mul_hi_u32 s15, s89, s49
	s_addc_u32 s3, s3, s13
	s_add_u32 s2, s2, s6
	s_addc_u32 s3, s3, s7
	s_mul_i32 s22, s92, s49
	s_mul_i32 s4, s77, s36
	;; [unrolled: 1-line block ×3, first 2 shown]
	s_mul_hi_u32 s10, s77, s36
	s_lshl_b64 s[6:7], s[0:1], 10
	s_add_i32 s15, s15, s22
	s_and_b32 s65, s2, 0x3ffffff
	s_lshr_b64 s[0:1], s[2:3], 26
	s_mul_hi_u32 s3, s86, s47
	s_add_u32 s2, s13, s4
	s_mul_i32 s4, s90, s39
	s_addc_u32 s3, s3, s10
	s_add_u32 s2, s2, s4
	s_mul_hi_u32 s4, s90, s39
	s_mul_i32 s22, s92, s50
	s_addc_u32 s3, s3, s4
	s_add_u32 s2, s2, s8
	s_addc_u32 s3, s3, s9
	s_mul_i32 s8, s67, s48
	s_mul_i32 s9, s68, s46
	s_and_b32 s10, s2, 0x3ffffff
	s_lshr_b64 s[2:3], s[2:3], 26
	s_mul_hi_u32 s4, s67, s48
	s_add_u32 s8, s9, s8
	s_mul_hi_u32 s9, s68, s46
	s_mul_hi_u32 s13, s67, s49
	s_addc_u32 s4, s9, s4
	s_mul_i32 s9, s69, s38
	s_mul_i32 s92, s92, s94
	s_add_u32 s8, s8, s9
	s_mul_hi_u32 s9, s69, s38
	s_delay_alu instid0(SALU_CYCLE_1) | instskip(SKIP_1) | instid1(SALU_CYCLE_1)
	s_addc_u32 s4, s4, s9
	s_mul_i32 s9, s72, s78
	s_add_u32 s8, s8, s9
	s_mul_hi_u32 s9, s72, s78
	s_delay_alu instid0(SALU_CYCLE_1) | instskip(SKIP_1) | instid1(SALU_CYCLE_1)
	s_addc_u32 s4, s4, s9
	;; [unrolled: 5-line block ×4, first 2 shown]
	s_mul_i32 s9, s89, s49
	s_add_u32 s8, s8, s9
	s_addc_u32 s4, s4, s15
	s_add_u32 s6, s8, s6
	s_mul_i32 s8, s10, 0x3d10
	s_addc_u32 s4, s4, s7
	s_add_u32 s6, s6, s8
	s_mul_hi_u32 s8, s10, 0x3d10
	s_mul_i32 s7, s86, s36
	s_addc_u32 s4, s4, s8
	s_add_u32 s0, s6, s0
	s_addc_u32 s1, s4, s1
	s_mul_hi_u32 s6, s89, s50
	s_mul_i32 s4, s90, s47
	s_lshl_b64 s[8:9], s[10:11], 10
	s_add_i32 s10, s6, s22
	s_and_b32 s6, s0, 0x3ffffff
	s_lshr_b64 s[0:1], s[0:1], 26
	s_mul_hi_u32 s15, s86, s36
	s_add_u32 s4, s4, s7
	s_mul_hi_u32 s7, s90, s47
	s_mul_i32 s11, s68, s48
	s_addc_u32 s7, s7, s15
	s_add_u32 s2, s4, s2
	s_addc_u32 s3, s7, s3
	s_mul_i32 s7, s67, s49
	s_mul_hi_u32 s15, s68, s48
	s_and_b32 s4, s2, 0x3ffffff
	s_lshr_b64 s[2:3], s[2:3], 26
	s_add_u32 s7, s11, s7
	s_mul_i32 s11, s69, s46
	s_addc_u32 s13, s15, s13
	s_mul_hi_u32 s15, s69, s46
	s_add_u32 s7, s7, s11
	s_mul_i32 s11, s72, s38
	s_addc_u32 s13, s13, s15
	s_mul_hi_u32 s15, s72, s38
	;; [unrolled: 4-line block ×5, first 2 shown]
	s_add_u32 s7, s7, s11
	s_mul_i32 s11, s89, s50
	s_addc_u32 s13, s13, s15
	s_add_u32 s11, s7, s11
	s_addc_u32 s10, s13, s10
	s_add_u32 s8, s11, s8
	s_mul_i32 s13, s4, 0x3d10
	s_addc_u32 s10, s10, s9
	s_add_u32 s8, s8, s13
	s_mul_hi_u32 s13, s4, 0x3d10
	s_mul_hi_u32 s11, s90, s36
	s_addc_u32 s10, s10, s13
	s_add_u32 s0, s8, s0
	s_addc_u32 s1, s10, s1
	s_mul_hi_u32 s8, s89, s94
	s_mul_i32 s90, s90, s36
	s_lshl_b64 s[36:37], s[4:5], 10
	s_add_i32 s4, s8, s92
	s_and_b32 s8, s0, 0x3ffffff
	s_lshr_b64 s[34:35], s[0:1], 26
	s_add_u32 s0, s2, s90
	s_addc_u32 s1, s3, s11
	s_mul_hi_u32 s2, s67, s50
	s_mul_i32 s67, s67, s50
	s_mul_hi_u32 s3, s68, s49
	s_mul_i32 s68, s68, s49
	;; [unrolled: 2-line block ×3, first 2 shown]
	s_mul_i32 s88, s88, s39
	s_and_b32 s30, s0, 0x3ffffff
	s_lshr_b64 s[38:39], s[0:1], 26
	s_mul_hi_u32 s5, s69, s48
	s_mul_i32 s69, s69, s48
	v_alignbit_b32 v0, s1, s0, 26
	s_add_u32 s0, s68, s67
	s_addc_u32 s1, s3, s2
	s_mul_hi_u32 s10, s72, s46
	s_mul_i32 s72, s72, s46
	s_add_u32 s0, s0, s69
	s_addc_u32 s1, s1, s5
	s_add_u32 s0, s0, s72
	s_addc_u32 s1, s1, s10
	s_mul_i32 s86, s86, s78
	s_add_u32 s0, s0, s77
	s_addc_u32 s2, s1, s22
	s_mul_i32 s87, s87, s47
	s_add_u32 s0, s0, s86
	s_addc_u32 s2, s2, s23
	s_add_u32 s0, s0, s87
	s_addc_u32 s2, s2, s26
	s_mul_i32 s89, s89, s94
	s_add_u32 s0, s0, s88
	s_addc_u32 s2, s2, s27
	s_add_u32 s0, s0, s89
	s_addc_u32 s2, s2, s4
	s_add_u32 s0, s0, s36
	s_mul_i32 s4, s30, 0x3d10
	s_addc_u32 s2, s2, s37
	s_add_u32 s0, s0, s4
	s_mul_hi_u32 s4, s30, 0x3d10
	s_mul_i32 s86, s91, s53
	s_addc_u32 s2, s2, s4
	s_add_u32 s22, s0, s34
	v_readfirstlane_b32 s0, v0
	s_addc_u32 s23, s2, s35
	s_lshl_b64 s[30:31], s[30:31], 10
	s_and_b32 s26, s22, 0x3ffffff
	s_lshr_b64 s[22:23], s[22:23], 26
	s_mul_i32 s2, s0, 0x3d10
	s_mul_hi_u32 s0, s0, 0x3d10
	s_add_u32 s2, s2, s60
	s_addc_u32 s0, s0, 0
	s_add_u32 s2, s2, s30
	s_addc_u32 s0, s0, s31
	;; [unrolled: 2-line block ×3, first 2 shown]
	s_lshl_b64 s[34:35], s[38:39], 14
	s_and_b32 s27, s22, 0x3fffff
	s_lshr_b64 s[22:23], s[22:23], 22
	s_mul_hi_u32 s77, s91, s53
	s_add_u32 s22, s22, s34
	s_addc_u32 s23, s23, s35
	s_mul_hi_u32 s0, s22, 0x3d1
	s_mul_i32 s2, s23, 0x3d1
	v_readlane_b32 s88, v20, 15
	s_add_i32 s0, s0, s2
	s_mul_i32 s2, s22, 0x3d1
	v_readlane_b32 s78, v19, 19
	s_add_u32 s36, s2, s62
	s_addc_u32 s37, s0, 0
	s_lshl_b64 s[22:23], s[22:23], 6
	s_and_b32 s0, s36, 0x3ffffff
	s_lshr_b64 s[36:37], s[36:37], 26
	s_add_u32 s2, s22, s63
	s_addc_u32 s4, s23, 0
	s_add_u32 s22, s2, s36
	s_addc_u32 s23, s4, s37
	s_sub_i32 s33, s59, s0
	v_alignbit_b32 v0, s23, s22, 26
	s_and_b32 s22, s22, 0x3ffffff
	s_sub_i32 s14, s93, s14
	s_sub_i32 s12, s56, s12
	;; [unrolled: 1-line block ×3, first 2 shown]
	v_readfirstlane_b32 s38, v0
	s_sub_i32 s6, s16, s6
	s_sub_i32 s8, s18, s8
	;; [unrolled: 1-line block ×3, first 2 shown]
	s_mul_i32 s26, s41, s21
	s_add_i32 s38, s38, s64
	s_sub_i32 s27, s28, s27
	s_mul_hi_u32 s28, s41, s20
	s_sub_i32 s22, s58, s22
	s_sub_i32 s49, s57, s38
	s_mul_i32 s23, s75, s54
	s_add_i32 s28, s28, s26
	s_mul_hi_u32 s26, s75, s54
	s_add_i32 s38, s33, 0xffff0bc
	s_add_i32 s47, s14, 0xffffffc
	;; [unrolled: 1-line block ×10, first 2 shown]
	s_add_u32 s6, s23, s86
	s_mul_i32 s14, s73, s55
	s_addc_u32 s12, s26, s77
	s_add_u32 s6, s6, s14
	s_mul_hi_u32 s14, s73, s55
	s_mul_hi_u32 s19, s43, s44
	s_addc_u32 s12, s12, s14
	s_mul_i32 s14, s74, s17
	s_mul_i32 s72, s91, s61
	s_add_u32 s6, s6, s14
	s_mul_hi_u32 s14, s74, s17
	s_mul_i32 s57, s75, s53
	s_addc_u32 s12, s12, s14
	s_mul_i32 s14, s83, s88
	s_mul_hi_u32 s56, s75, s53
	s_add_u32 s6, s6, s14
	s_mul_hi_u32 s14, s83, s88
	s_mul_i32 s27, s73, s54
	s_addc_u32 s12, s12, s14
	s_mul_i32 s14, s40, s45
	s_mov_b32 s7, s25
	s_add_u32 s6, s6, s14
	s_mul_hi_u32 s14, s40, s45
	s_mul_hi_u32 s69, s91, s44
	s_addc_u32 s12, s12, s14
	s_mul_i32 s14, s24, s78
	s_mul_hi_u32 s8, s75, s61
	s_add_u32 s6, s6, s14
	s_mul_hi_u32 s14, s24, s78
	s_mov_b32 s9, s25
	s_addc_u32 s12, s12, s14
	s_mul_i32 s14, s41, s20
	s_mul_hi_u32 s67, s91, s20
	s_add_u32 s6, s6, s14
	s_mul_i32 s14, s43, s44
	s_addc_u32 s12, s12, s28
	s_add_u32 s6, s6, s14
	s_mul_i32 s14, s42, s61
	s_addc_u32 s12, s12, s19
	s_mul_hi_u32 s19, s42, s61
	s_add_u32 s22, s6, s14
	s_addc_u32 s23, s12, s19
	s_mul_i32 s6, s43, s21
	s_mul_hi_u32 s12, s43, s20
	s_and_b32 s19, s22, 0x3ffffff
	s_add_i32 s12, s12, s6
	s_lshr_b64 s[22:23], s[22:23], 26
	s_add_u32 s6, s57, s72
	s_addc_u32 s26, s56, s71
	s_add_u32 s6, s6, s27
	s_mul_hi_u32 s27, s73, s54
	s_mul_i32 s14, s75, s61
	s_addc_u32 s26, s26, s27
	s_mul_i32 s27, s74, s55
	s_mul_i32 s68, s91, s20
	s_add_u32 s6, s6, s27
	s_mul_hi_u32 s27, s74, s55
	s_mul_i32 s58, s43, s45
	s_addc_u32 s26, s26, s27
	s_mul_i32 s27, s83, s17
	s_mov_b32 s13, s25
	s_add_u32 s6, s6, s27
	s_mul_hi_u32 s27, s83, s17
	s_mul_i32 s33, s75, s20
	s_addc_u32 s26, s26, s27
	s_mul_i32 s27, s40, s88
	s_mul_i32 s35, s91, s78
	s_add_u32 s6, s6, s27
	s_mul_hi_u32 s27, s40, s88
	s_mul_hi_u32 s31, s91, s78
	s_addc_u32 s26, s26, s27
	s_mul_i32 s27, s24, s45
	s_mul_i32 s34, s91, s45
	s_add_u32 s6, s6, s27
	s_mul_hi_u32 s27, s24, s45
	s_mul_hi_u32 s10, s91, s45
	s_addc_u32 s26, s26, s27
	s_mul_i32 s27, s43, s20
	s_mov_b32 s15, s25
	s_add_u32 s6, s6, s27
	s_addc_u32 s12, s26, s12
	s_mul_i32 s26, s42, s44
	s_mul_hi_u32 s27, s41, s78
	s_add_u32 s6, s6, s26
	s_mul_hi_u32 s26, s42, s44
	s_mul_i32 s4, s91, s88
	s_addc_u32 s12, s12, s26
	s_add_u32 s22, s6, s22
	s_addc_u32 s23, s12, s23
	s_and_b32 s6, s22, 0x3ffffff
	s_mul_i32 s12, s41, s78
	s_mul_i32 s26, s6, 0x3d10
	s_lshr_b64 s[22:23], s[22:23], 26
	s_mul_hi_u32 s28, s6, 0x3d10
	s_add_u32 s62, s26, s12
	s_addc_u32 s63, s28, s27
	s_mul_i32 s12, s42, s21
	s_mul_hi_u32 s26, s42, s20
	s_lshl_b64 s[64:65], s[6:7], 10
	s_add_i32 s26, s26, s12
	s_and_b32 s6, s62, 0x3ffffff
	s_lshr_b64 s[62:63], s[62:63], 26
	s_add_u32 s7, s14, s70
	s_mul_i32 s14, s73, s53
	s_addc_u32 s8, s8, s69
	s_add_u32 s7, s7, s14
	s_mul_hi_u32 s14, s73, s53
	s_mul_i32 s27, s43, s78
	s_addc_u32 s8, s8, s14
	s_mul_i32 s14, s74, s54
	s_mul_hi_u32 s12, s75, s44
	s_add_u32 s7, s7, s14
	s_mul_hi_u32 s14, s74, s54
	s_mul_hi_u32 s28, s75, s20
	s_addc_u32 s8, s8, s14
	s_mul_i32 s14, s83, s55
	s_mov_b32 s69, s78
	s_add_u32 s7, s7, s14
	s_mul_hi_u32 s14, s83, s55
	s_mul_hi_u32 s2, s91, s88
	s_addc_u32 s8, s8, s14
	s_mul_i32 s14, s40, s17
	s_mul_hi_u32 s37, s91, s17
	s_add_u32 s7, s7, s14
	s_mul_hi_u32 s14, s40, s17
	s_mul_i32 s60, s91, s17
	s_addc_u32 s8, s8, s14
	s_mul_i32 s14, s24, s88
	s_mul_i32 s70, s73, s17
	s_add_u32 s7, s7, s14
	s_mul_hi_u32 s14, s24, s88
	s_mov_b32 s11, s25
	s_addc_u32 s8, s8, s14
	s_mul_i32 s14, s42, s20
	s_mul_i32 s71, s24, s20
	s_add_u32 s7, s7, s14
	s_addc_u32 s8, s8, s26
	s_add_u32 s22, s7, s22
	s_addc_u32 s23, s8, s23
	s_mul_i32 s26, s41, s45
	s_and_b32 s8, s22, 0x3ffffff
	s_lshr_b64 s[22:23], s[22:23], 26
	s_mul_hi_u32 s7, s41, s45
	s_add_u32 s26, s27, s26
	s_mul_hi_u32 s27, s43, s78
	s_mul_i32 s56, s8, 0x3d10
	s_addc_u32 s7, s27, s7
	s_add_u32 s26, s26, s64
	s_addc_u32 s7, s7, s65
	s_add_u32 s26, s26, s62
	s_addc_u32 s7, s7, s63
	s_mul_hi_u32 s57, s8, 0x3d10
	s_add_u32 s62, s26, s56
	s_addc_u32 s63, s7, s57
	s_mul_i32 s14, s75, s44
	s_lshl_b64 s[8:9], s[8:9], 10
	s_add_i32 s67, s67, s66
	s_and_b32 s7, s62, 0x3ffffff
	s_lshr_b64 s[64:65], s[62:63], 26
	s_add_u32 s14, s14, s68
	s_mul_i32 s57, s73, s61
	s_addc_u32 s12, s12, s67
	s_add_u32 s14, s14, s57
	s_mul_hi_u32 s57, s73, s61
	s_mul_i32 s27, s75, s21
	s_addc_u32 s12, s12, s57
	s_mul_i32 s57, s74, s53
	s_mul_hi_u32 s26, s75, s78
	s_add_u32 s14, s14, s57
	s_mul_hi_u32 s57, s74, s53
	s_mul_i32 s56, s75, s78
	s_addc_u32 s12, s12, s57
	s_mul_i32 s57, s83, s54
	s_mul_i32 s68, s75, s45
	s_add_u32 s14, s14, s57
	s_mul_hi_u32 s57, s83, s54
	s_mul_hi_u32 s63, s75, s45
	s_addc_u32 s12, s12, s57
	s_mul_i32 s57, s40, s55
	s_mul_i32 s62, s75, s88
	s_add_u32 s14, s14, s57
	s_mul_hi_u32 s57, s40, s55
	s_mul_hi_u32 s0, s91, s55
	s_addc_u32 s12, s12, s57
	s_mul_i32 s57, s24, s17
	s_mul_i32 s59, s91, s55
	s_add_u32 s14, s14, s57
	s_mul_hi_u32 s57, s24, s17
	s_mov_b32 s5, s25
	s_addc_u32 s12, s12, s57
	s_add_u32 s22, s14, s22
	s_addc_u32 s23, s12, s23
	s_mul_i32 s57, s41, s88
	s_and_b32 s12, s22, 0x3ffffff
	s_lshr_b64 s[22:23], s[22:23], 26
	s_mul_hi_u32 s14, s41, s88
	s_add_u32 s57, s58, s57
	s_mul_hi_u32 s58, s43, s45
	s_mul_i32 s72, s74, s45
	s_addc_u32 s14, s58, s14
	s_mul_i32 s58, s42, s78
	s_mul_i32 s77, s43, s53
	s_add_u32 s57, s57, s58
	s_mul_hi_u32 s58, s42, s78
	s_mul_hi_u32 s16, s91, s54
	s_addc_u32 s14, s14, s58
	s_add_u32 s8, s57, s8
	s_addc_u32 s9, s14, s9
	s_mul_i32 s14, s12, 0x3d10
	s_mul_i32 s57, s75, s17
	s_add_u32 s8, s8, s14
	s_mul_hi_u32 s14, s12, 0x3d10
	s_mul_hi_u32 s58, s75, s88
	s_addc_u32 s9, s9, s14
	s_add_u32 s64, s8, s64
	s_addc_u32 s65, s9, s65
	s_mul_i32 s14, s73, s44
	s_lshl_b64 s[66:67], s[12:13], 10
	s_add_i32 s28, s28, s27
	s_and_b32 s8, s64, 0x3ffffff
	s_lshr_b64 s[64:65], s[64:65], 26
	s_mul_hi_u32 s13, s73, s44
	s_add_u32 s12, s14, s33
	s_mul_i32 s14, s74, s61
	s_addc_u32 s13, s13, s28
	s_add_u32 s12, s12, s14
	s_mul_hi_u32 s14, s74, s61
	s_mul_i32 s27, s43, s88
	s_addc_u32 s13, s13, s14
	s_mul_i32 s14, s83, s53
	s_mul_i32 s33, s73, s21
	s_add_u32 s12, s12, s14
	s_mul_hi_u32 s14, s83, s53
	s_mul_hi_u32 s9, s75, s17
	s_addc_u32 s13, s13, s14
	s_mul_i32 s14, s40, s54
	s_mul_i32 s18, s91, s54
	s_add_u32 s12, s12, s14
	s_mul_hi_u32 s14, s40, s54
	s_mov_b32 s3, s25
	s_addc_u32 s13, s13, s14
	s_mul_i32 s14, s24, s55
	s_mov_b32 s1, s25
	s_add_u32 s12, s12, s14
	s_mul_hi_u32 s14, s24, s55
	s_mov_b32 s30, s91
	s_addc_u32 s13, s13, s14
	s_add_u32 s22, s12, s22
	s_addc_u32 s23, s13, s23
	s_mul_i32 s13, s41, s17
	s_and_b32 s28, s22, 0x3ffffff
	s_lshr_b64 s[22:23], s[22:23], 26
	s_mul_hi_u32 s14, s41, s17
	s_add_u32 s13, s13, s35
	s_addc_u32 s14, s14, s31
	s_add_u32 s13, s13, s27
	s_mul_hi_u32 s27, s43, s88
	s_mul_i32 s35, s28, 0x3d10
	s_addc_u32 s14, s14, s27
	s_mul_i32 s27, s42, s45
	s_mul_hi_u32 s12, s75, s55
	s_add_u32 s27, s13, s27
	s_mul_hi_u32 s13, s42, s45
	s_mov_b32 s31, s75
	s_addc_u32 s14, s14, s13
	s_add_u32 s27, s27, s66
	s_addc_u32 s14, s14, s67
	s_add_u32 s27, s27, s35
	s_mul_hi_u32 s35, s28, 0x3d10
	s_mul_i32 s13, s75, s55
	s_addc_u32 s14, s14, s35
	s_add_u32 s64, s27, s64
	s_addc_u32 s65, s14, s65
	s_mul_hi_u32 s14, s73, s20
	s_mul_i32 s27, s73, s20
	s_mul_i32 s35, s74, s44
	s_lshl_b64 s[28:29], s[28:29], 10
	s_add_i32 s14, s14, s33
	s_and_b32 s78, s64, 0x3ffffff
	s_lshr_b64 s[64:65], s[64:65], 26
	s_mul_hi_u32 s33, s74, s44
	s_add_u32 s27, s35, s27
	s_addc_u32 s14, s33, s14
	s_mul_i32 s33, s83, s61
	s_mul_i32 s35, s83, s44
	s_add_u32 s27, s27, s33
	s_mul_hi_u32 s33, s83, s61
	s_mov_b32 s75, s69
	s_addc_u32 s14, s14, s33
	s_mul_i32 s33, s40, s53
	s_mul_hi_u32 s66, s73, s45
	s_add_u32 s27, s27, s33
	s_mul_hi_u32 s33, s40, s53
	s_mul_hi_u32 s67, s73, s88
	s_addc_u32 s14, s14, s33
	s_mul_i32 s33, s24, s54
	v_readlane_b32 s89, v20, 16
	s_add_u32 s27, s27, s33
	s_mul_hi_u32 s33, s24, s54
	s_delay_alu instid0(SALU_CYCLE_1)
	s_addc_u32 s14, s14, s33
	s_add_u32 s22, s27, s22
	s_addc_u32 s23, s14, s23
	s_and_b32 s14, s22, 0x3ffffff
	s_lshr_b64 s[22:23], s[22:23], 26
	s_add_u32 s34, s56, s34
	s_addc_u32 s10, s26, s10
	s_mul_i32 s26, s41, s55
	s_mul_i32 s33, s73, s69
	s_add_u32 s26, s34, s26
	s_mul_hi_u32 s34, s41, s55
	s_mul_hi_u32 s27, s73, s69
	s_addc_u32 s10, s10, s34
	s_mul_i32 s34, s43, s17
	s_mul_i32 s56, s73, s45
	s_add_u32 s26, s26, s34
	s_mul_hi_u32 s34, s43, s17
	s_mul_i32 s69, s74, s88
	s_addc_u32 s10, s10, s34
	s_mul_i32 s34, s42, s88
	s_delay_alu instid0(SALU_CYCLE_1) | instskip(SKIP_1) | instid1(SALU_CYCLE_1)
	s_add_u32 s26, s26, s34
	s_mul_hi_u32 s34, s42, s88
	s_addc_u32 s10, s10, s34
	s_add_u32 s26, s26, s28
	s_mul_i32 s28, s14, 0x3d10
	s_addc_u32 s10, s10, s29
	s_add_u32 s26, s26, s28
	s_mul_hi_u32 s28, s14, 0x3d10
	s_mul_i32 s34, s74, s21
	s_addc_u32 s10, s10, s28
	s_add_u32 s28, s26, s64
	s_addc_u32 s29, s10, s65
	s_mul_hi_u32 s10, s74, s20
	s_mul_i32 s26, s74, s20
	s_lshl_b64 s[14:15], s[14:15], 10
	s_add_i32 s10, s10, s34
	s_and_b32 s86, s28, 0x3ffffff
	s_lshr_b64 s[28:29], s[28:29], 26
	s_mul_hi_u32 s34, s83, s44
	s_add_u32 s26, s35, s26
	s_addc_u32 s10, s34, s10
	s_mul_i32 s34, s40, s61
	s_mul_hi_u32 s64, s73, s17
	s_add_u32 s26, s26, s34
	s_mul_hi_u32 s34, s40, s61
	s_mul_i32 s35, s83, s20
	s_addc_u32 s10, s10, s34
	s_mul_i32 s34, s24, s53
	s_mul_hi_u32 s65, s74, s88
	s_add_u32 s26, s26, s34
	s_mul_hi_u32 s34, s24, s53
	s_delay_alu instid0(SALU_CYCLE_1)
	s_addc_u32 s10, s10, s34
	s_add_u32 s22, s26, s22
	s_addc_u32 s23, s10, s23
	s_and_b32 s10, s22, 0x3ffffff
	s_lshr_b64 s[22:23], s[22:23], 26
	s_add_u32 s4, s68, s4
	s_addc_u32 s2, s63, s2
	s_add_u32 s4, s4, s33
	s_addc_u32 s2, s2, s27
	s_mul_i32 s27, s41, s54
	s_mul_i32 s63, s74, s75
	s_add_u32 s4, s4, s27
	s_mul_hi_u32 s27, s41, s54
	s_mul_hi_u32 s68, s74, s75
	s_addc_u32 s2, s2, s27
	s_mul_i32 s27, s43, s55
	s_mul_i32 s26, s73, s88
	s_add_u32 s4, s4, s27
	s_mul_hi_u32 s27, s43, s55
	s_mul_hi_u32 s33, s74, s45
	s_addc_u32 s2, s2, s27
	s_mul_i32 s27, s42, s17
	s_mul_hi_u32 s17, s42, s17
	s_add_u32 s4, s4, s27
	s_addc_u32 s2, s2, s17
	s_add_u32 s4, s4, s14
	s_mul_i32 s14, s10, 0x3d10
	s_addc_u32 s2, s2, s15
	s_add_u32 s4, s4, s14
	s_mul_hi_u32 s14, s10, 0x3d10
	s_mul_i32 s27, s83, s21
	s_addc_u32 s2, s2, s14
	s_add_u32 s14, s4, s28
	s_mul_hi_u32 s17, s83, s20
	s_addc_u32 s15, s2, s29
	s_mul_i32 s4, s40, s44
	s_mul_hi_u32 s2, s40, s44
	s_lshl_b64 s[10:11], s[10:11], 10
	s_add_i32 s17, s17, s27
	s_and_b32 s87, s14, 0x3ffffff
	s_lshr_b64 s[14:15], s[14:15], 26
	s_add_u32 s4, s4, s35
	s_addc_u32 s2, s2, s17
	s_mul_i32 s17, s24, s61
	s_mul_i32 s28, s40, s21
	s_add_u32 s4, s4, s17
	s_mul_hi_u32 s17, s24, s61
	s_mul_hi_u32 s27, s40, s20
	s_addc_u32 s2, s2, s17
	s_add_u32 s22, s4, s22
	s_addc_u32 s23, s2, s23
	s_mul_i32 s2, s40, s20
	s_mul_i32 s17, s24, s21
	s_mul_hi_u32 s29, s24, s20
	s_and_b32 s4, s22, 0x3ffffff
	s_lshr_b64 s[20:21], s[22:23], 26
	s_add_u32 s22, s62, s60
	s_addc_u32 s58, s58, s37
	s_add_u32 s22, s22, s56
	s_addc_u32 s58, s58, s66
	;; [unrolled: 2-line block ×3, first 2 shown]
	s_mul_i32 s68, s41, s53
	s_mul_hi_u32 s23, s83, s75
	s_add_u32 s22, s22, s68
	s_mul_hi_u32 s68, s41, s53
	s_mul_i32 s60, s83, s75
	s_addc_u32 s58, s58, s68
	s_mul_i32 s68, s43, s54
	s_mul_hi_u32 s56, s83, s45
	s_add_u32 s22, s22, s68
	s_mul_hi_u32 s68, s43, s54
	s_mul_i32 s62, s83, s45
	s_addc_u32 s58, s58, s68
	s_mul_i32 s68, s42, s55
	s_mul_hi_u32 s55, s42, s55
	s_add_u32 s22, s22, s68
	s_addc_u32 s55, s58, s55
	s_add_u32 s10, s22, s10
	s_addc_u32 s11, s55, s11
	s_mul_i32 s55, s4, 0x3d10
	s_mul_i32 s68, s24, s44
	s_add_u32 s10, s10, s55
	s_mul_hi_u32 s55, s4, 0x3d10
	s_mov_b32 s37, s83
	s_addc_u32 s11, s11, s55
	s_add_u32 s10, s10, s14
	s_addc_u32 s11, s11, s15
	s_mul_hi_u32 s63, s24, s44
	s_lshl_b64 s[4:5], s[4:5], 10
	s_add_i32 s27, s27, s28
	s_and_b32 s83, s10, 0x3ffffff
	s_lshr_b64 s[10:11], s[10:11], 26
	s_add_u32 s2, s68, s2
	s_addc_u32 s15, s63, s27
	s_add_u32 s14, s2, s20
	s_addc_u32 s15, s15, s21
	s_and_b32 s2, s14, 0x3ffffff
	s_lshr_b64 s[14:15], s[14:15], 26
	s_add_u32 s57, s57, s59
	s_addc_u32 s0, s9, s0
	s_add_u32 s9, s57, s26
	s_addc_u32 s0, s0, s67
	s_add_u32 s9, s9, s72
	s_addc_u32 s0, s0, s33
	s_mul_i32 s22, s41, s61
	s_add_u32 s9, s9, s60
	s_mul_hi_u32 s58, s41, s61
	s_addc_u32 s0, s0, s23
	s_add_u32 s9, s9, s22
	s_mov_b32 s34, s73
	s_mul_hi_u32 s66, s40, s75
	s_mul_i32 s73, s40, s75
	s_mul_hi_u32 s75, s43, s53
	s_addc_u32 s0, s0, s58
	s_mul_i32 s21, s42, s54
	s_add_u32 s9, s9, s77
	s_mul_hi_u32 s20, s42, s54
	s_addc_u32 s0, s0, s75
	s_add_u32 s9, s9, s21
	s_addc_u32 s0, s0, s20
	s_mul_i32 s59, s2, 0x3d10
	s_add_u32 s4, s9, s4
	s_mul_hi_u32 s54, s2, 0x3d10
	s_addc_u32 s0, s0, s5
	s_add_u32 s4, s4, s59
	s_addc_u32 s0, s0, s54
	s_add_u32 s4, s4, s10
	s_addc_u32 s5, s0, s11
	s_lshl_b64 s[2:3], s[2:3], 10
	s_add_i32 s29, s29, s17
	s_and_b32 s57, s4, 0x3ffffff
	s_lshr_b64 s[4:5], s[4:5], 26
	s_add_u32 s10, s14, s71
	s_addc_u32 s11, s15, s29
	s_and_b32 s0, s10, 0x3ffffff
	s_lshr_b64 s[14:15], s[10:11], 26
	s_add_u32 s13, s13, s18
	s_addc_u32 s12, s12, s16
	s_add_u32 s13, s13, s70
	s_addc_u32 s12, s12, s64
	;; [unrolled: 2-line block ×4, first 2 shown]
	s_mov_b32 s35, s74
	s_mul_i32 s74, s41, s44
	s_add_u32 s13, s13, s73
	s_mul_hi_u32 s55, s41, s44
	s_addc_u32 s12, s12, s66
	s_mul_i32 s68, s43, s61
	s_add_u32 s13, s13, s74
	s_mul_hi_u32 s28, s43, s61
	s_addc_u32 s12, s12, s55
	s_mul_hi_u32 s27, s42, s53
	s_mul_i32 s53, s42, s53
	s_add_u32 s13, s13, s68
	v_alignbit_b32 v0, s11, s10, 26
	s_addc_u32 s12, s12, s28
	s_add_u32 s13, s13, s53
	s_addc_u32 s12, s12, s27
	s_mul_i32 s10, s0, 0x3d10
	s_add_u32 s2, s13, s2
	s_mul_hi_u32 s9, s0, 0x3d10
	s_addc_u32 s3, s12, s3
	v_readfirstlane_b32 s16, v0
	s_add_u32 s2, s2, s10
	s_addc_u32 s3, s3, s9
	s_add_u32 s2, s2, s4
	s_addc_u32 s3, s3, s5
	s_lshr_b32 s4, s11, 26
	s_mul_i32 s17, s16, 0x3d10
	s_mul_hi_u32 s16, s16, 0x3d10
	s_mulk_i32 s4, 0x3d10
	s_lshl_b64 s[0:1], s[0:1], 10
	s_and_b32 s33, s2, 0x3ffffff
	s_lshr_b64 s[2:3], s[2:3], 26
	s_add_i32 s16, s16, s4
	s_add_u32 s4, s17, s19
	s_addc_u32 s5, s16, 0
	s_add_u32 s0, s4, s0
	s_addc_u32 s1, s5, s1
	;; [unrolled: 2-line block ×3, first 2 shown]
	s_lshl_b64 s[2:3], s[14:15], 14
	s_and_b32 s54, s0, 0x3fffff
	s_lshr_b64 s[0:1], s[0:1], 22
	s_mov_b64 s[28:29], s[24:25]
	s_add_u32 s0, s0, s2
	s_addc_u32 s1, s1, s3
	s_mul_hi_u32 s2, s0, 0x3d1
	s_mul_i32 s4, s1, 0x3d1
	s_mul_i32 s3, s0, 0x3d1
	s_add_i32 s4, s2, s4
	s_add_u32 s2, s3, s6
	s_addc_u32 s3, s4, 0
	s_lshl_b64 s[0:1], s[0:1], 6
	s_and_b32 s20, s2, 0x3ffffff
	s_lshr_b64 s[2:3], s[2:3], 26
	s_add_u32 s0, s0, s7
	s_addc_u32 s1, s1, 0
	s_add_u32 s0, s0, s2
	v_readlane_b32 s4, v19, 20
	s_addc_u32 s1, s1, s3
	v_readlane_b32 s5, v19, 21
	s_lshr_b64 s[2:3], s[0:1], 26
	s_and_b32 s61, s0, 0x3ffffff
	s_add_u32 s56, s2, s8
	s_add_u32 s4, s4, 64
	s_addc_u32 s5, s5, 0
	s_cmpk_eq_i32 s4, 0x7fc0
	s_mov_b32 s55, s25
	s_cbranch_scc0 .LBB0_1
; %bb.2:
	s_lshl_b32 s9, s78, 1
	s_lshl_b32 s16, s86, 1
	;; [unrolled: 1-line block ×3, first 2 shown]
	s_mul_i32 s12, s83, s9
	s_mul_i32 s13, s87, s16
	s_lshl_b32 s4, s20, 1
	s_lshl_b32 s5, s61, 1
	s_mul_hi_u32 s11, s83, s9
	s_mul_hi_u32 s14, s87, s16
	s_mul_i32 s10, s8, s57
	s_add_u32 s12, s12, s13
	s_mul_hi_u32 s7, s8, s57
	s_addc_u32 s11, s11, s14
	s_mul_i32 s6, s33, s5
	s_add_u32 s10, s12, s10
	s_mul_hi_u32 s2, s33, s5
	s_addc_u32 s7, s11, s7
	;; [unrolled: 4-line block ×3, first 2 shown]
	s_add_u32 s6, s6, s1
	s_addc_u32 s7, s2, s0
	s_mul_i32 s18, s83, s16
	s_mul_i32 s19, s87, s87
	s_and_b32 s0, s6, 0x3ffffff
	s_lshr_b64 s[6:7], s[6:7], 26
	s_mul_hi_u32 s17, s83, s16
	s_mul_hi_u32 s21, s87, s87
	s_mul_i32 s15, s57, s9
	s_add_u32 s18, s18, s19
	s_mul_hi_u32 s14, s57, s9
	s_addc_u32 s17, s17, s21
	s_mul_i32 s13, s8, s33
	s_add_u32 s15, s18, s15
	s_mul_hi_u32 s12, s8, s33
	s_addc_u32 s14, s17, s14
	;; [unrolled: 4-line block ×3, first 2 shown]
	s_add_u32 s11, s13, s11
	s_addc_u32 s2, s12, s2
	s_add_u32 s6, s11, s6
	s_addc_u32 s7, s2, s7
	s_and_b32 s2, s6, 0x3ffffff
	s_mul_i32 s10, s20, s20
	s_mul_i32 s11, s2, 0x3d10
	s_mul_hi_u32 s1, s20, s20
	s_lshr_b64 s[6:7], s[6:7], 26
	s_mul_hi_u32 s12, s2, 0x3d10
	s_add_u32 s10, s11, s10
	s_addc_u32 s11, s12, s1
	s_lshl_b32 s22, s87, 1
	s_mov_b32 s3, 0
	s_mul_i32 s23, s57, s16
	s_mul_i32 s24, s83, s22
	s_and_b32 s1, s10, 0x3fffffd
	s_lshr_b64 s[10:11], s[10:11], 26
	s_lshl_b64 s[12:13], s[2:3], 10
	s_mul_hi_u32 s21, s57, s16
	s_mul_hi_u32 s25, s83, s22
	s_mul_i32 s19, s33, s9
	s_add_u32 s23, s23, s24
	s_mul_hi_u32 s18, s33, s9
	s_addc_u32 s21, s21, s25
	s_mul_i32 s17, s8, s54
	s_add_u32 s19, s23, s19
	s_mul_hi_u32 s2, s8, s54
	s_addc_u32 s18, s21, s18
	s_add_u32 s17, s19, s17
	s_addc_u32 s2, s18, s2
	s_add_u32 s6, s17, s6
	s_addc_u32 s7, s2, s7
	s_mul_i32 s15, s61, s4
	s_mul_hi_u32 s14, s61, s4
	s_and_b32 s2, s6, 0x3ffffff
	s_lshr_b64 s[6:7], s[6:7], 26
	s_add_u32 s12, s12, s15
	s_addc_u32 s13, s13, s14
	s_mul_i32 s18, s2, 0x3d10
	s_add_u32 s10, s12, s10
	s_mul_hi_u32 s17, s2, 0x3d10
	s_addc_u32 s11, s13, s11
	s_add_u32 s12, s10, s18
	s_addc_u32 s13, s11, s17
	s_mul_i32 s26, s57, s22
	s_mul_i32 s27, s83, s83
	s_and_b32 s10, s12, 0x3ffffff
	s_lshr_b64 s[12:13], s[12:13], 26
	s_lshl_b64 s[14:15], s[2:3], 10
	s_mul_hi_u32 s25, s57, s22
	s_mul_hi_u32 s28, s83, s83
	s_mul_i32 s24, s33, s16
	s_add_u32 s26, s26, s27
	s_mul_hi_u32 s23, s33, s16
	s_addc_u32 s25, s25, s28
	s_mul_i32 s21, s54, s9
	s_add_u32 s24, s26, s24
	s_mul_hi_u32 s2, s54, s9
	s_addc_u32 s23, s25, s23
	s_add_u32 s21, s24, s21
	s_addc_u32 s2, s23, s2
	s_add_u32 s6, s21, s6
	s_addc_u32 s7, s2, s7
	s_mul_i32 s17, s56, s4
	s_mul_i32 s19, s61, s61
	s_mul_hi_u32 s11, s56, s4
	s_mul_hi_u32 s18, s61, s61
	s_and_b32 s2, s6, 0x3ffffff
	s_lshr_b64 s[6:7], s[6:7], 26
	s_add_u32 s17, s17, s19
	s_addc_u32 s11, s11, s18
	s_mul_i32 s23, s2, 0x3d10
	s_add_u32 s14, s17, s14
	s_mul_hi_u32 s21, s2, 0x3d10
	s_addc_u32 s11, s11, s15
	s_add_u32 s14, s14, s23
	s_addc_u32 s11, s11, s21
	s_add_u32 s12, s14, s12
	s_addc_u32 s13, s11, s13
	s_lshl_b32 s24, s83, 1
	s_mul_i32 s25, s33, s22
	s_mul_i32 s26, s57, s24
	s_and_b32 s11, s12, 0x3ffffff
	s_lshr_b64 s[12:13], s[12:13], 26
	s_lshl_b64 s[14:15], s[2:3], 10
	s_mul_hi_u32 s17, s33, s22
	s_mul_hi_u32 s27, s57, s24
	;; [unrolled: 1-line block ×3, first 2 shown]
	s_mul_i32 s16, s54, s16
	s_add_u32 s25, s25, s26
	s_addc_u32 s17, s17, s27
	s_add_u32 s16, s25, s16
	s_addc_u32 s2, s17, s2
	;; [unrolled: 2-line block ×3, first 2 shown]
	s_mul_i32 s19, s78, s4
	s_mul_i32 s23, s56, s5
	s_mul_hi_u32 s18, s78, s4
	s_mul_hi_u32 s21, s56, s5
	s_and_b32 s2, s6, 0x3ffffff
	s_lshr_b64 s[16:17], s[6:7], 26
	s_add_u32 s19, s19, s23
	s_addc_u32 s18, s18, s21
	s_mul_i32 s7, s2, 0x3d10
	s_add_u32 s14, s19, s14
	s_mul_hi_u32 s6, s2, 0x3d10
	s_addc_u32 s15, s18, s15
	s_add_u32 s7, s14, s7
	s_addc_u32 s6, s15, s6
	s_add_u32 s12, s7, s12
	s_addc_u32 s13, s6, s13
	s_mul_i32 s27, s33, s24
	s_mul_i32 s28, s57, s57
	s_and_b32 s6, s12, 0x3ffffff
	s_lshr_b64 s[12:13], s[12:13], 26
	s_lshl_b64 s[14:15], s[2:3], 10
	s_mul_hi_u32 s26, s33, s24
	s_mul_hi_u32 s29, s57, s57
	s_mul_hi_u32 s2, s54, s22
	s_mul_i32 s22, s54, s22
	s_add_u32 s27, s27, s28
	s_addc_u32 s26, s26, s29
	s_add_u32 s22, s27, s22
	s_addc_u32 s2, s26, s2
	;; [unrolled: 2-line block ×3, first 2 shown]
	s_mul_i32 s21, s78, s5
	s_mul_i32 s25, s56, s56
	s_mul_hi_u32 s19, s78, s5
	s_mul_hi_u32 s23, s56, s56
	s_and_b32 s2, s16, 0x3ffffff
	s_lshr_b64 s[16:17], s[16:17], 26
	s_mul_i32 s18, s86, s4
	s_add_u32 s21, s21, s25
	s_mul_hi_u32 s7, s86, s4
	s_addc_u32 s19, s19, s23
	s_add_u32 s18, s21, s18
	s_addc_u32 s7, s19, s7
	s_mul_i32 s26, s2, 0x3d10
	s_add_u32 s14, s18, s14
	s_mul_hi_u32 s22, s2, 0x3d10
	s_addc_u32 s7, s7, s15
	s_add_u32 s14, s14, s26
	s_addc_u32 s7, s7, s22
	s_add_u32 s12, s14, s12
	s_addc_u32 s13, s7, s13
	s_lshl_b32 s26, s57, 1
	s_lshl_b64 s[14:15], s[2:3], 10
	s_mul_hi_u32 s2, s54, s24
	s_mul_i32 s24, s54, s24
	s_mul_i32 s27, s33, s26
	s_and_b32 s7, s12, 0x3ffffff
	s_lshr_b64 s[12:13], s[12:13], 26
	s_mul_hi_u32 s28, s33, s26
	s_add_u32 s24, s24, s27
	s_addc_u32 s2, s2, s28
	s_add_u32 s16, s24, s16
	s_addc_u32 s17, s2, s17
	s_mul_i32 s22, s86, s5
	s_mul_i32 s25, s8, s78
	s_mul_hi_u32 s21, s86, s5
	s_mul_hi_u32 s23, s8, s78
	s_and_b32 s2, s16, 0x3ffffff
	s_lshr_b64 s[16:17], s[16:17], 26
	s_mul_i32 s19, s87, s4
	s_add_u32 s22, s22, s25
	s_mul_hi_u32 s18, s87, s4
	s_addc_u32 s21, s21, s23
	s_add_u32 s19, s22, s19
	s_addc_u32 s18, s21, s18
	s_mul_i32 s27, s2, 0x3d10
	s_add_u32 s14, s19, s14
	s_mul_hi_u32 s24, s2, 0x3d10
	s_addc_u32 s15, s18, s15
	s_add_u32 s14, s14, s27
	s_addc_u32 s15, s15, s24
	s_add_u32 s12, s14, s12
	s_addc_u32 s13, s15, s13
	s_lshl_b64 s[18:19], s[2:3], 10
	s_mul_hi_u32 s2, s54, s26
	s_mul_i32 s26, s54, s26
	s_mul_i32 s29, s33, s33
	s_and_b32 s14, s12, 0x3ffffff
	s_lshr_b64 s[12:13], s[12:13], 26
	s_mul_hi_u32 s30, s33, s33
	s_add_u32 s26, s26, s29
	s_addc_u32 s2, s2, s30
	s_add_u32 s16, s26, s16
	s_addc_u32 s17, s2, s17
	s_mul_i32 s25, s8, s86
	s_mul_i32 s28, s78, s78
	s_mul_hi_u32 s24, s8, s86
	s_mul_hi_u32 s27, s78, s78
	s_and_b32 s2, s16, 0x3ffffff
	s_lshr_b64 s[16:17], s[16:17], 26
	s_mul_i32 s23, s87, s5
	s_add_u32 s25, s25, s28
	s_mul_hi_u32 s22, s87, s5
	s_addc_u32 s24, s24, s27
	s_mul_i32 s21, s83, s4
	s_add_u32 s23, s25, s23
	s_mul_hi_u32 s15, s83, s4
	s_addc_u32 s22, s24, s22
	s_add_u32 s21, s23, s21
	s_addc_u32 s15, s22, s15
	s_mul_i32 s29, s2, 0x3d10
	s_add_u32 s18, s21, s18
	s_mul_hi_u32 s26, s2, 0x3d10
	s_addc_u32 s15, s15, s19
	s_add_u32 s18, s18, s29
	s_addc_u32 s15, s15, s26
	s_add_u32 s12, s18, s12
	s_addc_u32 s13, s15, s13
	s_lshl_b64 s[18:19], s[2:3], 10
	s_lshl_b32 s2, s33, 1
	s_and_b32 s15, s12, 0x3ffffff
	s_mul_i32 s24, s54, s2
	s_lshr_b64 s[12:13], s[12:13], 26
	s_mul_hi_u32 s2, s54, s2
	s_add_u32 s16, s16, s24
	s_addc_u32 s17, s17, s2
	s_mul_i32 s28, s8, s87
	s_mul_i32 s30, s86, s9
	s_mul_hi_u32 s27, s8, s87
	s_mul_hi_u32 s29, s86, s9
	s_and_b32 s2, s16, 0x3ffffff
	s_lshr_b64 s[24:25], s[16:17], 26
	s_mul_i32 s26, s83, s5
	s_add_u32 s28, s28, s30
	s_mul_hi_u32 s23, s83, s5
	s_addc_u32 s27, s27, s29
	s_mul_i32 s22, s57, s4
	s_add_u32 s26, s28, s26
	s_mul_hi_u32 s21, s57, s4
	s_addc_u32 s23, s27, s23
	s_add_u32 s22, s26, s22
	s_addc_u32 s21, s23, s21
	s_mul_i32 s17, s2, 0x3d10
	s_add_u32 s18, s22, s18
	s_mul_hi_u32 s16, s2, 0x3d10
	s_addc_u32 s19, s21, s19
	s_add_u32 s17, s18, s17
	s_addc_u32 s16, s19, s16
	s_add_u32 s12, s17, s12
	s_addc_u32 s13, s16, s13
	s_lshl_b64 s[18:19], s[2:3], 10
	s_mul_i32 s2, s54, s54
	s_and_b32 s16, s12, 0x3ffffff
	s_lshr_b64 s[12:13], s[12:13], 26
	s_mul_hi_u32 s22, s57, s5
	s_mul_i32 s23, s57, s5
	s_mul_hi_u32 s5, s54, s54
	s_mul_hi_u32 s17, s33, s4
	s_mul_i32 s21, s33, s4
	s_add_u32 s4, s24, s2
	s_addc_u32 s5, s25, s5
	s_mul_i32 s29, s87, s9
	s_mul_i32 s31, s86, s86
	s_mul_hi_u32 s26, s8, s83
	s_mul_i32 s27, s8, s83
	s_mul_hi_u32 s28, s87, s9
	s_mul_hi_u32 s30, s86, s86
	s_and_b32 s2, s4, 0x3ffffff
	s_lshr_b64 s[8:9], s[4:5], 26
	s_add_u32 s29, s29, s31
	s_addc_u32 s28, s28, s30
	s_add_u32 s27, s29, s27
	s_addc_u32 s26, s28, s26
	;; [unrolled: 2-line block ×3, first 2 shown]
	v_alignbit_b32 v0, s5, s4, 26
	s_add_u32 s21, s23, s21
	s_addc_u32 s17, s22, s17
	s_mul_i32 s25, s2, 0x3d10
	s_add_u32 s18, s21, s18
	s_addc_u32 s4, s17, s19
	s_mul_hi_u32 s24, s2, 0x3d10
	s_add_u32 s5, s18, s25
	v_readfirstlane_b32 s18, v0
	s_addc_u32 s17, s4, s24
	s_add_u32 s4, s5, s12
	s_addc_u32 s5, s17, s13
	s_lshl_b64 s[12:13], s[2:3], 10
	s_mul_i32 s2, s18, 0x3d10
	s_and_b32 s17, s4, 0x3ffffff
	s_lshr_b64 s[4:5], s[4:5], 26
	s_mul_hi_u32 s18, s18, 0x3d10
	s_add_u32 s0, s2, s0
	s_addc_u32 s2, s18, 0
	s_add_u32 s0, s0, s12
	s_addc_u32 s2, s2, s13
	;; [unrolled: 2-line block ×3, first 2 shown]
	s_lshl_b64 s[8:9], s[8:9], 14
	s_lshr_b64 s[12:13], s[4:5], 22
	s_and_b32 s18, s4, 0x3fffff
	s_add_u32 s4, s12, s8
	s_addc_u32 s5, s13, s9
	s_mul_hi_u32 s2, s4, 0x3d1
	s_mul_i32 s0, s5, 0x3d1
	s_mul_i32 s8, s4, 0x3d1
	s_add_i32 s2, s2, s0
	s_add_u32 s0, s8, s1
	s_addc_u32 s1, s2, 0
	s_lshl_b64 s[4:5], s[4:5], 6
	s_and_b32 s21, s0, 0x3ffffff
	s_lshr_b64 s[0:1], s[0:1], 26
	s_add_u32 s2, s4, s10
	s_addc_u32 s4, s5, 0
	s_add_u32 s0, s2, s0
	s_addc_u32 s1, s4, s1
	s_and_b32 s25, s0, 0x3ffffff
	s_lshr_b64 s[4:5], s[0:1], 26
	s_mul_i32 s10, s6, s83
	s_add_u32 s24, s4, s11
	s_addc_u32 s26, s5, 0
	s_mul_hi_u32 s5, s24, s57
	s_mul_i32 s4, s26, s57
	s_mul_i32 s12, s7, s87
	s_add_i32 s5, s5, s4
	s_mul_hi_u32 s9, s6, s83
	s_mul_hi_u32 s11, s7, s87
	s_mul_i32 s19, s14, s86
	s_add_u32 s10, s12, s10
	s_mul_hi_u32 s13, s14, s86
	s_addc_u32 s9, s11, s9
	s_mul_i32 s23, s15, s78
	s_add_u32 s10, s10, s19
	s_mul_hi_u32 s22, s15, s78
	s_addc_u32 s9, s9, s13
	;; [unrolled: 4-line block ×7, first 2 shown]
	s_mul_i32 s4, s24, s57
	s_add_u32 s1, s1, s8
	s_addc_u32 s2, s0, s2
	s_add_u32 s0, s1, s4
	s_addc_u32 s1, s2, s5
	s_mul_i32 s8, s26, s33
	s_mul_hi_u32 s9, s24, s33
	s_mul_i32 s12, s6, s57
	s_mul_i32 s22, s7, s83
	s_and_b32 s19, s0, 0x3ffffff
	s_lshr_b64 s[0:1], s[0:1], 26
	s_add_i32 s9, s9, s8
	s_mul_hi_u32 s11, s6, s57
	s_mul_hi_u32 s13, s7, s83
	s_mul_i32 s27, s14, s87
	s_add_u32 s12, s22, s12
	s_mul_hi_u32 s23, s14, s87
	s_addc_u32 s11, s13, s11
	s_mul_i32 s29, s15, s86
	s_add_u32 s12, s12, s27
	s_mul_hi_u32 s28, s15, s86
	s_addc_u32 s11, s11, s23
	s_mul_i32 s31, s16, s78
	s_add_u32 s12, s12, s29
	s_mul_hi_u32 s30, s16, s78
	s_addc_u32 s11, s11, s28
	s_mul_i32 s35, s17, s56
	s_add_u32 s12, s12, s31
	s_mul_hi_u32 s34, s17, s56
	s_addc_u32 s11, s11, s30
	s_mul_i32 s37, s18, s61
	s_add_u32 s12, s12, s35
	s_mul_hi_u32 s36, s18, s61
	s_addc_u32 s11, s11, s34
	s_mul_i32 s10, s25, s54
	s_add_u32 s12, s12, s37
	s_mul_hi_u32 s2, s25, s54
	s_addc_u32 s11, s11, s36
	s_mul_i32 s8, s24, s33
	s_add_u32 s10, s12, s10
	s_addc_u32 s2, s11, s2
	s_add_u32 s8, s10, s8
	s_addc_u32 s2, s2, s9
	;; [unrolled: 2-line block ×3, first 2 shown]
	s_and_b32 s2, s0, 0x3ffffff
	s_mul_i32 s4, s21, s20
	s_mul_i32 s8, s2, 0x3d10
	s_mul_hi_u32 s5, s21, s20
	s_lshr_b64 s[0:1], s[0:1], 26
	s_mul_hi_u32 s9, s2, 0x3d10
	s_add_u32 s4, s8, s4
	s_addc_u32 s5, s9, s5
	s_lshl_b64 s[8:9], s[2:3], 10
	s_mul_i32 s2, s26, s54
	s_mul_hi_u32 s13, s24, s54
	s_mul_i32 s28, s6, s33
	s_mul_i32 s30, s7, s57
	s_and_b32 s27, s4, 0x3ffffff
	s_lshr_b64 s[4:5], s[4:5], 26
	s_add_i32 s13, s13, s2
	s_mul_hi_u32 s23, s6, s33
	s_mul_hi_u32 s29, s7, s57
	s_mul_i32 s34, s14, s83
	s_add_u32 s28, s30, s28
	s_mul_hi_u32 s31, s14, s83
	s_addc_u32 s23, s29, s23
	s_mul_i32 s36, s15, s87
	s_add_u32 s28, s28, s34
	s_mul_hi_u32 s35, s15, s87
	s_addc_u32 s23, s23, s31
	;; [unrolled: 4-line block ×5, first 2 shown]
	s_mul_i32 s2, s24, s54
	s_add_u32 s28, s28, s42
	s_addc_u32 s23, s23, s41
	s_add_u32 s2, s28, s2
	s_addc_u32 s13, s23, s13
	;; [unrolled: 2-line block ×3, first 2 shown]
	s_mul_i32 s11, s21, s61
	s_mul_i32 s22, s25, s20
	s_mul_hi_u32 s10, s21, s61
	s_mul_hi_u32 s12, s25, s20
	s_and_b32 s2, s0, 0x3ffffff
	s_lshr_b64 s[0:1], s[0:1], 26
	s_add_u32 s11, s22, s11
	s_addc_u32 s10, s12, s10
	s_add_u32 s8, s11, s8
	s_addc_u32 s9, s10, s9
	s_mul_i32 s23, s2, 0x3d10
	s_add_u32 s4, s8, s4
	s_mul_hi_u32 s13, s2, 0x3d10
	s_addc_u32 s5, s9, s5
	s_add_u32 s4, s4, s23
	s_addc_u32 s5, s5, s13
	s_lshl_b64 s[8:9], s[2:3], 10
	s_mul_i32 s2, s26, s20
	s_mul_hi_u32 s13, s24, s20
	s_mul_i32 s29, s6, s54
	s_mul_i32 s30, s7, s33
	s_and_b32 s28, s4, 0x3ffffff
	s_lshr_b64 s[4:5], s[4:5], 26
	s_add_i32 s13, s13, s2
	s_mul_hi_u32 s2, s6, s54
	s_mul_hi_u32 s31, s7, s33
	s_add_u32 s29, s30, s29
	s_mul_i32 s30, s14, s57
	s_addc_u32 s2, s31, s2
	s_mul_hi_u32 s31, s14, s57
	s_add_u32 s29, s29, s30
	s_mul_i32 s30, s15, s83
	s_addc_u32 s2, s2, s31
	;; [unrolled: 4-line block ×5, first 2 shown]
	s_mul_hi_u32 s31, s18, s78
	s_add_u32 s29, s29, s30
	s_addc_u32 s2, s2, s31
	s_add_u32 s0, s29, s0
	s_addc_u32 s1, s2, s1
	s_mul_i32 s11, s21, s56
	s_mul_i32 s22, s25, s61
	s_mul_hi_u32 s10, s21, s56
	s_mul_hi_u32 s12, s25, s61
	s_and_b32 s2, s0, 0x3ffffff
	s_lshr_b64 s[0:1], s[0:1], 26
	s_mul_i32 s23, s24, s20
	s_add_u32 s11, s22, s11
	s_addc_u32 s10, s12, s10
	s_add_u32 s11, s11, s23
	s_addc_u32 s10, s10, s13
	s_mul_i32 s30, s2, 0x3d10
	s_add_u32 s8, s11, s8
	s_mul_hi_u32 s29, s2, 0x3d10
	s_addc_u32 s9, s10, s9
	s_add_u32 s8, s8, s30
	s_addc_u32 s9, s9, s29
	s_add_u32 s4, s8, s4
	s_addc_u32 s5, s9, s5
	s_lshl_b64 s[8:9], s[2:3], 10
	s_mul_i32 s2, s26, s61
	s_mul_hi_u32 s10, s24, s61
	s_mul_i32 s11, s14, s33
	s_add_i32 s30, s10, s2
	s_mul_i32 s10, s7, s54
	s_and_b32 s29, s4, 0x3ffffff
	s_lshr_b64 s[4:5], s[4:5], 26
	s_mul_hi_u32 s2, s7, s54
	s_mul_hi_u32 s36, s14, s33
	s_add_u32 s10, s11, s10
	s_mul_i32 s11, s15, s57
	s_addc_u32 s2, s36, s2
	s_mul_hi_u32 s36, s15, s57
	s_add_u32 s10, s10, s11
	s_mul_i32 s11, s16, s83
	s_addc_u32 s2, s2, s36
	;; [unrolled: 4-line block ×4, first 2 shown]
	s_mul_hi_u32 s36, s18, s86
	s_add_u32 s10, s10, s11
	s_addc_u32 s2, s2, s36
	s_add_u32 s0, s10, s0
	s_addc_u32 s1, s2, s1
	s_mul_i32 s13, s21, s78
	s_mul_i32 s35, s6, s20
	s_mul_hi_u32 s12, s21, s78
	s_mul_hi_u32 s34, s6, s20
	s_and_b32 s2, s0, 0x3ffffff
	s_lshr_b64 s[10:11], s[0:1], 26
	s_mul_i32 s23, s25, s56
	s_add_u32 s13, s13, s35
	s_mul_hi_u32 s22, s25, s56
	s_addc_u32 s12, s12, s34
	s_mul_i32 s31, s24, s61
	s_add_u32 s13, s13, s23
	s_addc_u32 s12, s12, s22
	s_add_u32 s13, s13, s31
	s_addc_u32 s12, s12, s30
	s_mul_i32 s1, s2, 0x3d10
	s_add_u32 s8, s13, s8
	s_mul_hi_u32 s0, s2, 0x3d10
	s_addc_u32 s9, s12, s9
	s_add_u32 s1, s8, s1
	s_addc_u32 s8, s9, s0
	s_add_u32 s0, s1, s4
	s_addc_u32 s1, s8, s5
	s_lshl_b64 s[8:9], s[2:3], 10
	s_mul_i32 s2, s26, s56
	s_mul_hi_u32 s22, s24, s56
	s_mul_i32 s37, s14, s54
	s_mul_i32 s38, s15, s33
	s_lshr_b64 s[4:5], s[0:1], 26
	s_add_i32 s22, s22, s2
	s_mul_hi_u32 s2, s14, s54
	s_mul_hi_u32 s39, s15, s33
	s_add_u32 s37, s38, s37
	s_mul_i32 s38, s16, s57
	s_addc_u32 s2, s39, s2
	s_mul_hi_u32 s39, s16, s57
	s_add_u32 s37, s37, s38
	s_mul_i32 s38, s17, s83
	s_addc_u32 s2, s2, s39
	;; [unrolled: 4-line block ×3, first 2 shown]
	s_mul_hi_u32 s39, s18, s87
	s_add_u32 s37, s37, s38
	s_addc_u32 s2, s2, s39
	s_add_u32 s10, s37, s10
	s_addc_u32 s11, s2, s11
	s_mul_i32 s34, s6, s61
	s_mul_i32 s36, s7, s20
	s_mul_hi_u32 s31, s6, s61
	s_mul_hi_u32 s35, s7, s20
	s_and_b32 s2, s10, 0x3ffffff
	s_lshr_b64 s[10:11], s[10:11], 26
	s_mul_i32 s12, s21, s86
	s_add_u32 s34, s36, s34
	s_mul_hi_u32 s1, s21, s86
	s_addc_u32 s31, s35, s31
	s_mul_i32 s23, s25, s78
	s_add_u32 s12, s34, s12
	s_mul_hi_u32 s13, s25, s78
	s_addc_u32 s1, s31, s1
	s_mul_i32 s30, s24, s56
	s_add_u32 s12, s12, s23
	s_addc_u32 s1, s1, s13
	s_add_u32 s12, s12, s30
	s_addc_u32 s1, s1, s22
	s_mul_i32 s38, s2, 0x3d10
	s_add_u32 s8, s12, s8
	s_mul_hi_u32 s37, s2, 0x3d10
	s_addc_u32 s1, s1, s9
	s_add_u32 s8, s8, s38
	s_addc_u32 s1, s1, s37
	s_add_u32 s4, s8, s4
	s_addc_u32 s5, s1, s5
	s_lshl_b64 s[12:13], s[2:3], 10
	s_mul_i32 s2, s26, s78
	s_mul_hi_u32 s23, s24, s78
	s_mul_i32 s40, s15, s54
	s_mul_i32 s41, s16, s33
	s_lshr_b64 s[8:9], s[4:5], 26
	s_add_i32 s23, s23, s2
	s_mul_hi_u32 s2, s15, s54
	s_mul_hi_u32 s42, s16, s33
	s_add_u32 s40, s41, s40
	s_mul_i32 s41, s17, s57
	s_addc_u32 s2, s42, s2
	s_mul_hi_u32 s42, s17, s57
	s_add_u32 s40, s40, s41
	s_mul_i32 s41, s18, s83
	s_addc_u32 s2, s2, s42
	s_mul_hi_u32 s42, s18, s83
	s_add_u32 s40, s40, s41
	s_addc_u32 s2, s2, s42
	s_add_u32 s10, s40, s10
	s_addc_u32 s11, s2, s11
	s_mul_i32 s35, s6, s56
	s_mul_i32 s37, s7, s61
	s_mul_hi_u32 s34, s6, s56
	s_mul_hi_u32 s36, s7, s61
	s_and_b32 s2, s10, 0x3ffffff
	s_lshr_b64 s[10:11], s[10:11], 26
	s_mul_i32 s39, s14, s20
	s_add_u32 s35, s37, s35
	s_mul_hi_u32 s38, s14, s20
	s_addc_u32 s34, s36, s34
	s_mul_i32 s5, s21, s87
	s_add_u32 s35, s35, s39
	s_mul_hi_u32 s1, s21, s87
	s_addc_u32 s34, s34, s38
	;; [unrolled: 4-line block ×3, first 2 shown]
	s_mul_i32 s31, s24, s78
	s_add_u32 s5, s5, s30
	s_addc_u32 s1, s1, s22
	s_add_u32 s5, s5, s31
	s_addc_u32 s1, s1, s23
	s_mul_i32 s41, s2, 0x3d10
	s_add_u32 s5, s5, s12
	s_mul_hi_u32 s40, s2, 0x3d10
	s_addc_u32 s1, s1, s13
	s_add_u32 s5, s5, s41
	s_addc_u32 s1, s1, s40
	s_add_u32 s12, s5, s8
	s_addc_u32 s13, s1, s9
	s_lshl_b64 s[30:31], s[2:3], 10
	s_mul_i32 s2, s26, s86
	s_mul_hi_u32 s22, s24, s86
	s_mul_i32 s34, s16, s54
	s_mul_i32 s35, s17, s33
	s_lshr_b64 s[8:9], s[12:13], 26
	s_add_i32 s22, s22, s2
	s_mul_hi_u32 s2, s16, s54
	s_mul_hi_u32 s45, s17, s33
	s_add_u32 s34, s35, s34
	s_mul_i32 s35, s18, s57
	s_addc_u32 s2, s45, s2
	s_mul_hi_u32 s45, s18, s57
	s_add_u32 s34, s34, s35
	s_addc_u32 s2, s2, s45
	s_add_u32 s10, s34, s10
	s_addc_u32 s11, s2, s11
	s_mul_i32 s38, s6, s78
	s_mul_i32 s40, s7, s56
	s_mul_hi_u32 s37, s6, s78
	s_mul_hi_u32 s39, s7, s56
	s_and_b32 s2, s10, 0x3ffffff
	s_lshr_b64 s[34:35], s[10:11], 26
	s_mul_i32 s42, s14, s61
	s_add_u32 s38, s40, s38
	s_mul_hi_u32 s41, s14, s61
	s_addc_u32 s37, s39, s37
	s_mul_i32 s44, s15, s20
	s_add_u32 s38, s38, s42
	s_mul_hi_u32 s43, s15, s20
	s_addc_u32 s37, s37, s41
	;; [unrolled: 4-line block ×4, first 2 shown]
	s_mul_i32 s36, s24, s86
	s_add_u32 s5, s5, s23
	s_addc_u32 s1, s1, s13
	s_add_u32 s5, s5, s36
	s_addc_u32 s1, s1, s22
	s_mul_i32 s11, s2, 0x3d10
	s_add_u32 s5, s5, s30
	s_mul_hi_u32 s10, s2, 0x3d10
	s_addc_u32 s1, s1, s31
	s_add_u32 s5, s5, s11
	s_addc_u32 s1, s1, s10
	s_add_u32 s10, s5, s8
	s_addc_u32 s11, s1, s9
	s_lshl_b64 s[30:31], s[2:3], 10
	s_mul_i32 s2, s26, s87
	s_mul_hi_u32 s13, s24, s87
	s_mul_i32 s46, s17, s54
	s_mul_i32 s47, s18, s33
	s_lshr_b64 s[8:9], s[10:11], 26
	s_add_i32 s13, s13, s2
	s_mul_hi_u32 s2, s17, s54
	s_mul_hi_u32 s48, s18, s33
	s_add_u32 s46, s47, s46
	s_addc_u32 s2, s48, s2
	s_add_u32 s34, s46, s34
	s_addc_u32 s35, s2, s35
	s_mul_i32 s37, s6, s86
	s_mul_i32 s39, s7, s78
	s_mul_hi_u32 s36, s6, s86
	s_mul_hi_u32 s38, s7, s78
	s_and_b32 s2, s34, 0x3ffffff
	s_lshr_b64 s[34:35], s[34:35], 26
	s_mul_i32 s41, s14, s56
	s_add_u32 s37, s39, s37
	s_mul_hi_u32 s40, s14, s56
	s_addc_u32 s36, s38, s36
	s_mul_i32 s43, s15, s61
	s_add_u32 s37, s37, s41
	s_mul_hi_u32 s42, s15, s61
	s_addc_u32 s36, s36, s40
	;; [unrolled: 4-line block ×5, first 2 shown]
	s_mul_i32 s23, s24, s87
	s_add_u32 s5, s5, s22
	s_addc_u32 s1, s1, s11
	s_add_u32 s5, s5, s23
	s_addc_u32 s1, s1, s13
	s_mul_i32 s47, s2, 0x3d10
	s_add_u32 s5, s5, s30
	s_mul_hi_u32 s46, s2, 0x3d10
	s_addc_u32 s1, s1, s31
	s_add_u32 s5, s5, s47
	s_addc_u32 s1, s1, s46
	s_add_u32 s8, s5, s8
	s_addc_u32 s9, s1, s9
	s_lshl_b64 s[36:37], s[2:3], 10
	s_mul_i32 s26, s26, s83
	s_mul_hi_u32 s2, s24, s83
	s_lshr_b64 s[30:31], s[8:9], 26
	s_add_i32 s9, s2, s26
	s_mul_i32 s2, s18, s54
	s_mul_hi_u32 s22, s7, s86
	s_mul_i32 s23, s7, s86
	s_mul_hi_u32 s7, s18, s54
	s_mul_hi_u32 s11, s6, s87
	s_mul_i32 s13, s6, s87
	s_add_u32 s6, s34, s2
	s_addc_u32 s7, s35, s7
	s_mul_hi_u32 s26, s14, s78
	s_mul_i32 s38, s14, s78
	s_mul_hi_u32 s39, s15, s56
	s_mul_i32 s40, s15, s56
	s_and_b32 s2, s6, 0x3ffffff
	s_lshr_b64 s[14:15], s[6:7], 26
	s_add_u32 s13, s23, s13
	s_addc_u32 s11, s22, s11
	s_add_u32 s13, s13, s38
	s_addc_u32 s11, s11, s26
	s_mul_hi_u32 s41, s16, s61
	s_mul_i32 s16, s16, s61
	s_add_u32 s13, s13, s40
	s_addc_u32 s11, s11, s39
	s_mul_hi_u32 s42, s17, s20
	s_mul_i32 s17, s17, s20
	;; [unrolled: 4-line block ×4, first 2 shown]
	s_add_u32 s13, s13, s21
	s_addc_u32 s1, s11, s1
	s_mul_i32 s24, s24, s83
	s_add_u32 s11, s13, s25
	s_addc_u32 s1, s1, s5
	s_add_u32 s5, s11, s24
	s_addc_u32 s1, s1, s9
	v_alignbit_b32 v0, s7, s6, 26
	s_mul_i32 s34, s2, 0x3d10
	s_add_u32 s5, s5, s36
	s_mul_hi_u32 s18, s2, 0x3d10
	s_addc_u32 s1, s1, s37
	s_add_u32 s5, s5, s34
	s_addc_u32 s1, s1, s18
	s_add_u32 s6, s5, s30
	v_readfirstlane_b32 s5, v0
	s_addc_u32 s7, s1, s31
	s_lshl_b64 s[24:25], s[2:3], 10
	s_lshr_b64 s[16:17], s[6:7], 26
	s_delay_alu instid0(VALU_DEP_1)
	s_mul_i32 s1, s5, 0x3d10
	s_mul_hi_u32 s2, s5, 0x3d10
	s_add_u32 s1, s1, s19
	s_addc_u32 s2, s2, 0
	s_add_u32 s1, s1, s24
	s_addc_u32 s2, s2, s25
	;; [unrolled: 2-line block ×3, first 2 shown]
	s_lshl_b64 s[14:15], s[14:15], 14
	s_lshr_b64 s[18:19], s[16:17], 22
	s_and_b32 s64, s16, 0x3fffff
	s_add_u32 s14, s18, s14
	s_addc_u32 s15, s19, s15
	s_mul_hi_u32 s2, s14, 0x3d1
	s_mul_i32 s1, s15, 0x3d1
	s_mul_i32 s5, s14, 0x3d1
	s_add_i32 s2, s2, s1
	s_add_u32 s16, s5, s27
	s_addc_u32 s17, s2, 0
	s_lshl_b64 s[14:15], s[14:15], 6
	s_lshr_b64 s[18:19], s[16:17], 26
	s_add_u32 s1, s14, s28
	s_addc_u32 s2, s15, 0
	s_add_u32 s18, s1, s18
	s_addc_u32 s19, s2, s19
	s_delay_alu instid0(SALU_CYCLE_1) | instskip(NEXT) | instid1(SALU_CYCLE_1)
	s_lshr_b64 s[14:15], s[18:19], 26
	s_add_u32 s65, s14, s29
	s_addc_u32 s66, s15, 0
	s_lshl_b32 s15, s0, 1
	s_lshl_b32 s19, s4, 1
	;; [unrolled: 1-line block ×3, first 2 shown]
	s_and_b32 s15, s15, 0x7fffffe
	s_and_b32 s37, s10, 0x3ffffff
	;; [unrolled: 1-line block ×5, first 2 shown]
	s_lshl_b32 s1, s18, 1
	s_mul_i32 s19, s37, s15
	s_mul_i32 s24, s38, s23
	s_and_b32 s9, s1, 0x7fffffe
	s_and_b32 s67, s6, 0x3ffffff
	s_lshl_b32 s11, s65, 1
	s_and_b32 vcc_hi, s8, 0x3ffffff
	s_mul_hi_u32 s22, s37, s15
	s_mul_hi_u32 s25, s38, s23
	s_mul_i32 s1, s7, s64
	s_add_u32 s19, s19, s24
	s_mul_hi_u32 s2, s7, s64
	s_addc_u32 s22, s22, s25
	s_mul_i32 s13, s9, s67
	s_add_u32 s1, s19, s1
	s_mul_hi_u32 s5, s9, s67
	s_addc_u32 s2, s22, s2
	s_mul_i32 s17, s11, vcc_hi
	s_add_u32 s1, s1, s13
	s_mul_hi_u32 s14, s11, vcc_hi
	s_addc_u32 s2, s2, s5
	s_add_u32 s24, s1, s17
	s_addc_u32 s25, s2, s14
	s_mul_i32 s27, s37, s23
	s_mul_i32 s28, s38, s38
	s_and_b32 s5, s24, 0x3fffffe
	s_and_b32 s2, s16, 0x3ffffff
	s_lshr_b64 s[16:17], s[24:25], 26
	s_mul_hi_u32 s26, s37, s23
	s_mul_hi_u32 s29, s38, s38
	s_mul_i32 s25, vcc_hi, s15
	s_add_u32 s27, s27, s28
	s_mul_hi_u32 s24, vcc_hi, s15
	s_addc_u32 s26, s26, s29
	s_mul_i32 s14, s9, s64
	s_add_u32 s25, s27, s25
	s_mul_hi_u32 s1, s2, s2
	v_writelane_b32 v20, s2, 4
	s_mul_i32 s13, s2, s2
	s_mul_hi_u32 s2, s9, s64
	s_addc_u32 s24, s26, s24
	s_mul_i32 s22, s11, s67
	s_add_u32 s14, s25, s14
	s_mul_hi_u32 s19, s11, s67
	s_addc_u32 s2, s24, s2
	s_add_u32 s14, s14, s22
	s_addc_u32 s2, s2, s19
	s_add_u32 s16, s14, s16
	s_addc_u32 s17, s2, s17
	s_and_b32 s2, s16, 0x3ffffff
	s_lshr_b64 s[16:17], s[16:17], 26
	s_mul_i32 s14, s2, 0x3d10
	s_mul_hi_u32 s19, s2, 0x3d10
	s_add_u32 s24, s14, s13
	s_addc_u32 s25, s19, s1
	s_lshl_b32 s12, s12, 1
	s_and_b32 s14, s24, 0x3ffffff
	s_and_b32 s29, s12, 0x7fffffe
	s_mul_i32 s12, vcc_hi, s23
	s_mul_i32 s30, s37, s29
	s_lshr_b64 s[24:25], s[24:25], 26
	s_and_b32 s34, s18, 0x3ffffff
	s_lshl_b64 s[18:19], s[2:3], 10
	s_mul_hi_u32 s28, vcc_hi, s23
	s_mul_hi_u32 s31, s37, s29
	s_mul_i32 s27, s67, s15
	s_add_u32 s12, s12, s30
	s_mul_hi_u32 s26, s67, s15
	s_addc_u32 s28, s28, s31
	s_mul_i32 s13, s11, s64
	s_add_u32 s12, s12, s27
	s_mul_hi_u32 s2, s11, s64
	s_addc_u32 s26, s28, s26
	s_add_u32 s12, s12, s13
	s_addc_u32 s2, s26, s2
	s_add_u32 s12, s12, s16
	s_addc_u32 s13, s2, s17
	s_mul_i32 s22, s34, s7
	s_mul_hi_u32 s1, s34, s7
	s_and_b32 s2, s12, 0x3ffffff
	s_lshr_b64 s[12:13], s[12:13], 26
	s_add_u32 s18, s18, s22
	s_addc_u32 s1, s19, s1
	s_mul_i32 s16, s2, 0x3d10
	s_add_u32 s18, s18, s24
	s_mul_hi_u32 s17, s2, 0x3d10
	s_addc_u32 s1, s1, s25
	s_add_u32 s16, s18, s16
	s_addc_u32 s17, s1, s17
	s_mul_i32 s1, s66, s7
	s_mul_hi_u32 s18, s65, s7
	s_mul_hi_u32 s22, s34, s34
	v_writelane_b32 v20, s34, 5
	s_mul_i32 s26, s34, s34
	s_mul_i32 s34, vcc_hi, s29
	s_mul_i32 s35, s37, s37
	s_and_b32 s19, s16, 0x3ffffff
	s_lshr_b64 s[16:17], s[16:17], 26
	s_lshl_b64 s[24:25], s[2:3], 10
	s_add_i32 s18, s18, s1
	s_mul_hi_u32 s31, vcc_hi, s29
	s_mul_hi_u32 s36, s37, s37
	s_mul_i32 s30, s67, s23
	s_add_u32 s34, s34, s35
	s_mul_hi_u32 s28, s67, s23
	s_addc_u32 s31, s31, s36
	s_mul_i32 s27, s64, s15
	s_add_u32 s30, s34, s30
	s_mul_hi_u32 s2, s64, s15
	s_addc_u32 s28, s31, s28
	s_add_u32 s27, s30, s27
	s_addc_u32 s2, s28, s2
	s_add_u32 s12, s27, s12
	s_addc_u32 s13, s2, s13
	s_mul_i32 s1, s65, s7
	s_and_b32 s2, s12, 0x3ffffff
	s_lshr_b64 s[12:13], s[12:13], 26
	s_add_u32 s1, s1, s26
	s_addc_u32 s18, s18, s22
	s_mul_i32 s28, s2, 0x3d10
	s_add_u32 s1, s1, s24
	s_mul_hi_u32 s27, s2, 0x3d10
	s_addc_u32 s18, s18, s25
	s_add_u32 s1, s1, s28
	s_addc_u32 s18, s18, s27
	s_add_u32 s16, s1, s16
	s_addc_u32 s17, s18, s17
	s_lshl_b32 s10, s10, 1
	s_and_b32 s35, s0, 0x3ffffff
	s_and_b32 s10, s10, 0x7fffffe
	s_lshl_b64 s[0:1], s[2:3], 10
	s_mul_i32 s2, s66, s9
	s_mul_hi_u32 s22, s65, s9
	s_mul_i32 s28, s67, s29
	s_mul_i32 s30, vcc_hi, s10
	s_and_b32 s25, s16, 0x3ffffff
	s_lshr_b64 s[16:17], s[16:17], 26
	s_add_i32 s22, s22, s2
	s_mul_hi_u32 s27, s67, s29
	s_mul_hi_u32 s31, vcc_hi, s10
	s_mul_hi_u32 s2, s64, s23
	s_mul_i32 s23, s64, s23
	s_add_u32 s28, s28, s30
	s_addc_u32 s27, s27, s31
	s_add_u32 s23, s28, s23
	s_addc_u32 s2, s27, s2
	;; [unrolled: 2-line block ×3, first 2 shown]
	s_mul_i32 s24, s7, s35
	s_mul_i32 s26, s65, s9
	s_mul_hi_u32 s18, s7, s35
	s_and_b32 s2, s12, 0x3ffffff
	s_lshr_b64 s[12:13], s[12:13], 26
	s_add_u32 s24, s26, s24
	s_addc_u32 s18, s22, s18
	s_mul_i32 s27, s2, 0x3d10
	s_add_u32 s0, s24, s0
	s_mul_hi_u32 s23, s2, 0x3d10
	s_addc_u32 s1, s18, s1
	s_add_u32 s0, s0, s27
	s_addc_u32 s1, s1, s23
	s_add_u32 s16, s0, s16
	s_addc_u32 s17, s1, s17
	s_lshl_b64 s[26:27], s[2:3], 10
	s_mul_i32 s2, s65, s66
	s_mul_hi_u32 s18, s65, s65
	s_mul_i32 s30, s67, s10
	s_add_i32 s18, s18, s2
	s_mul_i32 s31, vcc_hi, vcc_hi
	s_and_b32 s0, s16, 0x3ffffff
	s_lshr_b64 s[16:17], s[16:17], 26
	s_and_b32 s36, s4, 0x3ffffff
	s_add_i32 s18, s18, s2
	s_mul_hi_u32 s2, s64, s29
	s_mul_i32 s28, s64, s29
	s_mul_hi_u32 s29, s67, s10
	s_mul_hi_u32 s34, vcc_hi, vcc_hi
	s_add_u32 s30, s30, s31
	s_addc_u32 s29, s29, s34
	s_add_u32 s28, s30, s28
	s_addc_u32 s2, s29, s2
	;; [unrolled: 2-line block ×3, first 2 shown]
	s_mul_i32 s4, s7, s36
	s_mul_i32 s23, s9, s35
	s_mul_hi_u32 s1, s7, s36
	s_mul_hi_u32 s22, s9, s35
	s_and_b32 s2, s12, 0x3ffffff
	s_lshr_b64 s[12:13], s[12:13], 26
	s_mul_i32 s24, s65, s65
	s_add_u32 s4, s23, s4
	s_addc_u32 s1, s22, s1
	s_add_u32 s4, s4, s24
	s_addc_u32 s1, s1, s18
	s_mul_i32 s29, s2, 0x3d10
	s_add_u32 s4, s4, s26
	s_mul_hi_u32 s28, s2, 0x3d10
	s_addc_u32 s1, s1, s27
	s_add_u32 s4, s4, s29
	s_addc_u32 s1, s1, s28
	s_add_u32 s16, s4, s16
	s_addc_u32 s17, s1, s17
	s_lshl_b64 s[26:27], s[2:3], 10
	s_lshl_b32 s2, s8, 1
	s_mul_hi_u32 s8, s64, s10
	s_and_b32 s31, s2, 0x7fffffe
	s_mul_i32 s2, s64, s10
	s_mul_i32 s10, s67, s31
	s_and_b32 s1, s16, 0x3ffffff
	s_lshr_b64 s[16:17], s[16:17], 26
	s_mul_hi_u32 s28, s67, s31
	s_add_u32 s2, s2, s10
	s_addc_u32 s8, s8, s28
	s_add_u32 s12, s2, s12
	s_addc_u32 s13, s8, s13
	s_mul_i32 s18, s7, s38
	s_mul_i32 s23, s9, s36
	s_mul_hi_u32 s4, s7, s38
	s_mul_hi_u32 s22, s9, s36
	s_and_b32 s2, s12, 0x3ffffff
	s_lshr_b64 s[28:29], s[12:13], 26
	s_mul_i32 s30, s11, s35
	s_add_u32 s12, s23, s18
	s_mul_hi_u32 s24, s11, s35
	s_addc_u32 s4, s22, s4
	s_add_u32 s12, s12, s30
	s_addc_u32 s4, s4, s24
	s_mul_i32 s10, s2, 0x3d10
	s_add_u32 s12, s12, s26
	s_mul_hi_u32 s8, s2, 0x3d10
	s_addc_u32 s4, s4, s27
	s_add_u32 s10, s12, s10
	s_addc_u32 s4, s4, s8
	s_add_u32 s16, s10, s16
	s_addc_u32 s17, s4, s17
	s_lshl_b64 s[26:27], s[2:3], 10
	s_mul_hi_u32 s2, s64, s31
	s_mul_i32 s30, s64, s31
	s_mul_i32 s31, s67, s67
	s_and_b32 s12, s16, 0x3ffffff
	s_lshr_b64 s[16:17], s[16:17], 26
	s_mul_hi_u32 s34, s67, s67
	s_add_u32 s30, s30, s31
	s_addc_u32 s2, s2, s34
	s_add_u32 s28, s30, s28
	s_addc_u32 s29, s2, s29
	s_mul_i32 s8, s7, s37
	s_mul_i32 s24, s35, s35
	s_mul_hi_u32 s4, s7, s37
	s_mul_hi_u32 s23, s35, s35
	s_and_b32 s2, s28, 0x3ffffff
	s_lshr_b64 s[28:29], s[28:29], 26
	s_mul_i32 s13, s9, s38
	s_add_u32 s8, s8, s24
	s_mul_hi_u32 s10, s9, s38
	s_addc_u32 s4, s4, s23
	s_mul_i32 s22, s11, s36
	s_add_u32 s8, s8, s13
	s_mul_hi_u32 s18, s11, s36
	s_addc_u32 s4, s4, s10
	s_add_u32 s8, s8, s22
	s_addc_u32 s4, s4, s18
	s_mul_i32 s31, s2, 0x3d10
	s_add_u32 s8, s8, s26
	s_mul_hi_u32 s30, s2, 0x3d10
	s_addc_u32 s4, s4, s27
	s_add_u32 s8, s8, s31
	s_addc_u32 s4, s4, s30
	s_add_u32 s16, s8, s16
	s_addc_u32 s17, s4, s17
	s_lshl_b64 s[26:27], s[2:3], 10
	s_lshl_b32 s2, s6, 1
	s_and_b32 s13, s16, 0x3ffffff
	s_and_b32 s2, s2, 0x7fffffe
	s_lshr_b64 s[16:17], s[16:17], 26
	s_mul_i32 s30, s64, s2
	s_mul_hi_u32 s2, s64, s2
	s_add_u32 s28, s28, s30
	s_addc_u32 s29, s29, s2
	s_mul_i32 s8, s7, vcc_hi
	s_mul_i32 s24, s36, s15
	s_mul_hi_u32 s4, s7, vcc_hi
	s_mul_hi_u32 s6, s36, s15
	s_and_b32 s2, s28, 0x3ffffff
	s_lshr_b64 s[28:29], s[28:29], 26
	s_mul_i32 s18, s9, s37
	s_add_u32 s8, s8, s24
	s_mul_hi_u32 s10, s9, s37
	s_addc_u32 s4, s4, s6
	s_mul_i32 s23, s11, s38
	s_add_u32 s6, s8, s18
	s_mul_hi_u32 s22, s11, s38
	s_addc_u32 s4, s4, s10
	s_add_u32 s6, s6, s23
	s_addc_u32 s4, s4, s22
	s_mul_i32 s31, s2, 0x3d10
	s_add_u32 s6, s6, s26
	s_mul_hi_u32 s30, s2, 0x3d10
	s_addc_u32 s4, s4, s27
	s_add_u32 s6, s6, s31
	s_addc_u32 s4, s4, s30
	s_add_u32 s26, s6, s16
	s_addc_u32 s27, s4, s17
	s_lshl_b64 s[30:31], s[2:3], 10
	s_mul_i32 s2, s64, s64
	s_and_b32 s16, s26, 0x3ffffff
	s_lshr_b64 s[26:27], s[26:27], 26
	s_mul_hi_u32 s4, s7, s67
	s_mul_i32 s10, s7, s67
	s_mul_hi_u32 s7, s64, s64
	s_add_u32 s6, s28, s2
	s_addc_u32 s7, s29, s7
	s_mul_hi_u32 s23, s38, s15
	s_mul_i32 s15, s38, s15
	s_mul_i32 s34, s36, s36
	s_mul_hi_u32 s17, s9, vcc_hi
	s_mul_i32 s18, s9, vcc_hi
	s_mul_hi_u32 s24, s36, s36
	s_and_b32 s2, s6, 0x3ffffff
	s_lshr_b64 s[8:9], s[6:7], 26
	s_add_u32 s15, s15, s34
	s_addc_u32 s23, s23, s24
	s_add_u32 s10, s15, s10
	s_addc_u32 s4, s23, s4
	s_mul_hi_u32 s22, s11, s37
	s_mul_i32 s11, s11, s37
	s_add_u32 s10, s10, s18
	v_alignbit_b32 v0, s7, s6, 26
	s_addc_u32 s4, s4, s17
	s_add_u32 s10, s10, s11
	s_addc_u32 s4, s4, s22
	s_mul_i32 s29, s2, 0x3d10
	s_add_u32 s10, s10, s30
	s_mul_hi_u32 s28, s2, 0x3d10
	s_addc_u32 s4, s4, s31
	v_readfirstlane_b32 s15, v0
	s_add_u32 s6, s10, s29
	s_addc_u32 s4, s4, s28
	s_add_u32 s6, s6, s26
	s_addc_u32 s7, s4, s27
	s_lshl_b64 s[10:11], s[2:3], 10
	s_mul_i32 s2, s15, 0x3d10
	s_and_b32 s17, s6, 0x3ffffff
	s_lshr_b64 s[6:7], s[6:7], 26
	s_mul_hi_u32 s4, s15, 0x3d10
	s_add_u32 s2, s2, s5
	s_addc_u32 s4, s4, 0
	s_add_u32 s2, s2, s10
	s_addc_u32 s5, s4, s11
	;; [unrolled: 2-line block ×3, first 2 shown]
	s_lshl_b64 s[8:9], s[8:9], 14
	s_lshr_b64 s[6:7], s[4:5], 22
	s_and_b32 s18, s4, 0x3fffff
	s_add_u32 s4, s6, s8
	s_addc_u32 s5, s7, s9
	s_mul_hi_u32 s6, s4, 0x3d1
	s_mul_i32 s2, s5, 0x3d1
	s_mul_i32 s7, s4, 0x3d1
	s_add_i32 s2, s6, s2
	s_add_u32 s6, s7, s14
	s_addc_u32 s7, s2, 0
	s_lshl_b64 s[4:5], s[4:5], 6
	s_and_b32 s24, s6, 0x3ffffff
	s_lshr_b64 s[6:7], s[6:7], 26
	s_add_u32 s2, s4, s19
	s_addc_u32 s5, s5, 0
	s_add_u32 s4, s2, s6
	s_addc_u32 s5, s5, s7
	s_and_b32 s26, s4, 0x3ffffff
	s_lshr_b64 s[6:7], s[4:5], 26
	s_mul_i32 s10, s0, s83
	s_add_u32 s25, s6, s25
	s_addc_u32 s27, s7, 0
	s_mul_hi_u32 s7, s25, s57
	s_mul_i32 s6, s27, s57
	s_mul_i32 s14, s1, s87
	s_add_i32 s7, s7, s6
	s_mul_hi_u32 s9, s0, s83
	s_mul_hi_u32 s11, s1, s87
	s_mul_i32 s19, s12, s86
	s_add_u32 s10, s14, s10
	s_mul_hi_u32 s15, s12, s86
	s_addc_u32 s9, s11, s9
	s_mul_i32 s23, s13, s78
	s_add_u32 s10, s10, s19
	s_mul_hi_u32 s22, s13, s78
	s_addc_u32 s9, s9, s15
	;; [unrolled: 4-line block ×4, first 2 shown]
	v_writelane_b32 v20, s35, 6
	s_mul_i32 s35, s18, s20
	s_add_u32 s10, s10, s31
	s_mul_hi_u32 s34, s18, s20
	s_addc_u32 s9, s9, s30
	s_mul_i32 s4, s24, s54
	s_add_u32 s10, s10, s35
	s_mul_hi_u32 s2, s24, s54
	s_addc_u32 s9, s9, s34
	;; [unrolled: 4-line block ×3, first 2 shown]
	s_mul_i32 s6, s25, s57
	s_add_u32 s4, s4, s8
	s_addc_u32 s2, s2, s5
	v_writelane_b32 v20, s37, 7
	s_add_u32 s4, s4, s6
	s_addc_u32 s5, s2, s7
	s_mul_i32 s8, s27, s33
	s_mul_hi_u32 s9, s25, s33
	s_mul_i32 s14, s0, s57
	s_mul_i32 s22, s1, s83
	s_and_b32 s19, s4, 0x3ffffff
	s_lshr_b64 s[4:5], s[4:5], 26
	s_add_i32 s9, s9, s8
	s_mul_hi_u32 s11, s0, s57
	s_mul_hi_u32 s15, s1, s83
	s_mul_i32 s28, s12, s87
	s_add_u32 s14, s22, s14
	v_writelane_b32 v20, s38, 8
	s_mul_hi_u32 s23, s12, s87
	s_addc_u32 s11, s15, s11
	s_mul_i32 s30, s13, s86
	s_add_u32 s14, s14, s28
	s_mul_hi_u32 s29, s13, s86
	s_addc_u32 s11, s11, s23
	s_mul_i32 s34, s16, s78
	s_add_u32 s14, s14, s30
	s_mul_hi_u32 s31, s16, s78
	s_addc_u32 s11, s11, s29
	v_writelane_b32 v20, s36, 9
	s_mul_i32 s36, s17, s56
	s_add_u32 s14, s14, s34
	s_mul_hi_u32 s35, s17, s56
	s_addc_u32 s11, s11, s31
	s_mul_i32 s38, s18, s61
	s_add_u32 s14, s14, s36
	s_mul_hi_u32 s37, s18, s61
	s_addc_u32 s11, s11, s35
	;; [unrolled: 4-line block ×3, first 2 shown]
	s_mul_i32 s8, s25, s33
	s_add_u32 s10, s14, s10
	s_addc_u32 s2, s11, s2
	s_add_u32 s8, s10, s8
	s_addc_u32 s2, s2, s9
	;; [unrolled: 2-line block ×3, first 2 shown]
	s_and_b32 s2, s4, 0x3ffffff
	s_mul_i32 s6, s24, s20
	s_mul_i32 s8, s2, 0x3d10
	s_mul_hi_u32 s7, s24, s20
	s_lshr_b64 s[4:5], s[4:5], 26
	s_mul_hi_u32 s9, s2, 0x3d10
	s_add_u32 s6, s8, s6
	s_addc_u32 s7, s9, s7
	s_lshl_b64 s[8:9], s[2:3], 10
	s_mul_i32 s2, s27, s54
	s_mul_hi_u32 s15, s25, s54
	s_mul_i32 s28, s0, s33
	s_mul_i32 s31, s1, s57
	s_and_b32 s30, s6, 0x3ffffff
	s_lshr_b64 s[6:7], s[6:7], 26
	s_add_i32 s15, s15, s2
	s_mul_hi_u32 s23, s0, s33
	s_mul_hi_u32 s29, s1, s57
	s_mul_i32 s35, s12, s83
	s_add_u32 s28, s31, s28
	s_mul_hi_u32 s34, s12, s83
	s_addc_u32 s23, s29, s23
	s_mul_i32 s37, s13, s87
	s_add_u32 s28, s28, s35
	s_mul_hi_u32 s36, s13, s87
	s_addc_u32 s23, s23, s34
	;; [unrolled: 4-line block ×5, first 2 shown]
	s_mul_i32 s2, s25, s54
	s_add_u32 s28, s28, s43
	s_addc_u32 s23, s23, s42
	s_add_u32 s2, s28, s2
	s_addc_u32 s15, s23, s15
	;; [unrolled: 2-line block ×3, first 2 shown]
	s_mul_i32 s11, s24, s61
	s_mul_i32 s22, s26, s20
	s_mul_hi_u32 s10, s24, s61
	s_mul_hi_u32 s14, s26, s20
	s_and_b32 s2, s4, 0x3ffffff
	s_lshr_b64 s[4:5], s[4:5], 26
	s_add_u32 s11, s22, s11
	s_addc_u32 s10, s14, s10
	s_add_u32 s8, s11, s8
	s_addc_u32 s9, s10, s9
	s_mul_i32 s23, s2, 0x3d10
	s_add_u32 s6, s8, s6
	s_mul_hi_u32 s15, s2, 0x3d10
	s_addc_u32 s7, s9, s7
	s_add_u32 s6, s6, s23
	s_addc_u32 s7, s7, s15
	s_lshl_b64 s[8:9], s[2:3], 10
	s_mul_i32 s2, s27, s20
	s_mul_hi_u32 s15, s25, s20
	s_mul_i32 s28, s0, s54
	s_mul_i32 s29, s1, s33
	s_and_b32 s31, s6, 0x3ffffff
	s_lshr_b64 s[6:7], s[6:7], 26
	s_add_i32 s15, s15, s2
	s_mul_hi_u32 s2, s0, s54
	s_mul_hi_u32 s34, s1, s33
	s_add_u32 s28, s29, s28
	s_mul_i32 s29, s12, s57
	s_addc_u32 s2, s34, s2
	s_mul_hi_u32 s34, s12, s57
	s_add_u32 s28, s28, s29
	s_mul_i32 s29, s13, s83
	s_addc_u32 s2, s2, s34
	;; [unrolled: 4-line block ×5, first 2 shown]
	s_mul_hi_u32 s34, s18, s78
	s_add_u32 s28, s28, s29
	s_addc_u32 s2, s2, s34
	s_add_u32 s4, s28, s4
	s_addc_u32 s5, s2, s5
	s_mul_i32 s11, s24, s56
	s_mul_i32 s22, s26, s61
	s_mul_hi_u32 s10, s24, s56
	s_mul_hi_u32 s14, s26, s61
	s_and_b32 s2, s4, 0x3ffffff
	s_lshr_b64 s[4:5], s[4:5], 26
	s_mul_i32 s23, s25, s20
	s_add_u32 s11, s22, s11
	s_addc_u32 s10, s14, s10
	s_add_u32 s11, s11, s23
	s_addc_u32 s10, s10, s15
	s_mul_i32 s29, s2, 0x3d10
	s_add_u32 s8, s11, s8
	s_mul_hi_u32 s28, s2, 0x3d10
	s_addc_u32 s9, s10, s9
	s_add_u32 s8, s8, s29
	s_addc_u32 s9, s9, s28
	s_add_u32 s6, s8, s6
	s_addc_u32 s7, s9, s7
	s_lshl_b64 s[8:9], s[2:3], 10
	s_mul_i32 s2, s27, s61
	s_mul_hi_u32 s10, s25, s61
	s_mul_i32 s11, s12, s33
	s_add_i32 s28, s10, s2
	s_mul_i32 s10, s1, s54
	s_and_b32 s34, s6, 0x3ffffff
	s_lshr_b64 s[6:7], s[6:7], 26
	s_mul_hi_u32 s2, s1, s54
	s_mul_hi_u32 s37, s12, s33
	s_add_u32 s10, s11, s10
	s_mul_i32 s11, s13, s57
	s_addc_u32 s2, s37, s2
	s_mul_hi_u32 s37, s13, s57
	s_add_u32 s10, s10, s11
	s_mul_i32 s11, s16, s83
	s_addc_u32 s2, s2, s37
	;; [unrolled: 4-line block ×4, first 2 shown]
	s_mul_hi_u32 s37, s18, s86
	s_add_u32 s10, s10, s11
	s_addc_u32 s2, s2, s37
	s_add_u32 s4, s10, s4
	s_addc_u32 s5, s2, s5
	s_mul_i32 s15, s24, s78
	s_mul_i32 s36, s0, s20
	s_mul_hi_u32 s14, s24, s78
	s_mul_hi_u32 s35, s0, s20
	s_and_b32 s2, s4, 0x3ffffff
	s_lshr_b64 s[10:11], s[4:5], 26
	s_mul_i32 s23, s26, s56
	s_add_u32 s15, s15, s36
	s_mul_hi_u32 s22, s26, s56
	s_addc_u32 s14, s14, s35
	s_mul_i32 s29, s25, s61
	s_add_u32 s15, s15, s23
	s_addc_u32 s14, s14, s22
	s_add_u32 s15, s15, s29
	s_addc_u32 s14, s14, s28
	s_mul_i32 s5, s2, 0x3d10
	s_add_u32 s8, s15, s8
	s_mul_hi_u32 s4, s2, 0x3d10
	s_addc_u32 s9, s14, s9
	s_add_u32 s5, s8, s5
	s_addc_u32 s8, s9, s4
	s_add_u32 s4, s5, s6
	s_addc_u32 s5, s8, s7
	s_lshl_b64 s[8:9], s[2:3], 10
	s_mul_i32 s2, s27, s56
	s_mul_hi_u32 s23, s25, s56
	s_mul_i32 s39, s12, s54
	s_mul_i32 s40, s13, s33
	s_lshr_b64 s[6:7], s[4:5], 26
	s_add_i32 s23, s23, s2
	s_mul_hi_u32 s2, s12, s54
	s_mul_hi_u32 s41, s13, s33
	s_add_u32 s39, s40, s39
	s_mul_i32 s40, s16, s57
	s_addc_u32 s2, s41, s2
	s_mul_hi_u32 s41, s16, s57
	s_add_u32 s39, s39, s40
	s_mul_i32 s40, s17, s83
	s_addc_u32 s2, s2, s41
	;; [unrolled: 4-line block ×3, first 2 shown]
	s_mul_hi_u32 s41, s18, s87
	s_add_u32 s39, s39, s40
	s_addc_u32 s2, s2, s41
	s_add_u32 s10, s39, s10
	s_addc_u32 s11, s2, s11
	s_mul_i32 s36, s0, s61
	s_mul_i32 s38, s1, s20
	s_mul_hi_u32 s35, s0, s61
	s_mul_hi_u32 s37, s1, s20
	s_and_b32 s2, s10, 0x3ffffff
	s_lshr_b64 s[10:11], s[10:11], 26
	s_mul_i32 s15, s24, s86
	s_add_u32 s36, s38, s36
	s_mul_hi_u32 s14, s24, s86
	s_addc_u32 s35, s37, s35
	s_mul_i32 s28, s26, s78
	s_add_u32 s15, s36, s15
	s_mul_hi_u32 s22, s26, s78
	s_addc_u32 s14, s35, s14
	s_mul_i32 s29, s25, s56
	s_add_u32 s15, s15, s28
	s_addc_u32 s14, s14, s22
	s_add_u32 s15, s15, s29
	s_addc_u32 s14, s14, s23
	s_mul_i32 s40, s2, 0x3d10
	s_add_u32 s8, s15, s8
	s_mul_hi_u32 s39, s2, 0x3d10
	s_addc_u32 s9, s14, s9
	s_add_u32 s8, s8, s40
	s_addc_u32 s9, s9, s39
	s_add_u32 s6, s8, s6
	s_addc_u32 s7, s9, s7
	s_lshl_b64 s[14:15], s[2:3], 10
	s_mul_i32 s2, s27, s78
	s_mul_hi_u32 s29, s25, s78
	s_mul_i32 s43, s13, s54
	s_mul_i32 s44, s16, s33
	s_lshr_b64 s[8:9], s[6:7], 26
	s_add_i32 s29, s29, s2
	s_mul_hi_u32 s2, s13, s54
	s_mul_hi_u32 s45, s16, s33
	s_add_u32 s43, s44, s43
	s_mul_i32 s44, s17, s57
	s_addc_u32 s2, s45, s2
	s_mul_hi_u32 s45, s17, s57
	s_add_u32 s43, s43, s44
	s_mul_i32 s44, s18, s83
	s_addc_u32 s2, s2, s45
	s_mul_hi_u32 s45, s18, s83
	s_add_u32 s43, s43, s44
	s_addc_u32 s2, s2, s45
	s_add_u32 s10, s43, s10
	s_addc_u32 s11, s2, s11
	s_mul_i32 s38, s0, s56
	s_mul_i32 s40, s1, s61
	s_mul_hi_u32 s37, s0, s56
	s_mul_hi_u32 s39, s1, s61
	s_and_b32 s2, s10, 0x3ffffff
	s_lshr_b64 s[10:11], s[10:11], 26
	s_mul_i32 s42, s12, s20
	s_add_u32 s38, s40, s38
	s_mul_hi_u32 s41, s12, s20
	s_addc_u32 s37, s39, s37
	s_mul_i32 s23, s24, s87
	s_add_u32 s38, s38, s42
	s_mul_hi_u32 s22, s24, s87
	s_addc_u32 s37, s37, s41
	;; [unrolled: 4-line block ×3, first 2 shown]
	s_mul_i32 s36, s25, s78
	s_add_u32 s23, s23, s35
	s_addc_u32 s22, s22, s28
	s_add_u32 s23, s23, s36
	s_addc_u32 s22, s22, s29
	s_mul_i32 s44, s2, 0x3d10
	s_add_u32 s14, s23, s14
	s_mul_hi_u32 s43, s2, 0x3d10
	s_addc_u32 s15, s22, s15
	s_add_u32 s14, s14, s44
	s_addc_u32 s15, s15, s43
	s_add_u32 s8, s14, s8
	s_addc_u32 s9, s15, s9
	s_lshl_b64 s[28:29], s[2:3], 10
	s_mul_i32 s2, s27, s86
	s_mul_hi_u32 s36, s25, s86
	s_mul_i32 s37, s17, s33
	s_add_i32 s39, s36, s2
	s_mul_i32 s36, s16, s54
	s_lshr_b64 s[14:15], s[8:9], 26
	s_mul_hi_u32 s2, s16, s54
	s_mul_hi_u32 s49, s17, s33
	s_add_u32 s36, s37, s36
	s_mul_i32 s37, s18, s57
	s_addc_u32 s2, s49, s2
	s_mul_hi_u32 s49, s18, s57
	s_add_u32 s36, s36, s37
	s_addc_u32 s2, s2, s49
	s_add_u32 s10, s36, s10
	s_addc_u32 s11, s2, s11
	s_mul_i32 s42, s0, s78
	s_mul_i32 s44, s1, s56
	s_mul_hi_u32 s41, s0, s78
	s_mul_hi_u32 s43, s1, s56
	s_and_b32 s2, s10, 0x3ffffff
	s_lshr_b64 s[36:37], s[10:11], 26
	s_mul_i32 s46, s12, s61
	s_add_u32 s42, s44, s42
	s_mul_hi_u32 s45, s12, s61
	s_addc_u32 s41, s43, s41
	s_mul_i32 s48, s13, s20
	s_add_u32 s42, s42, s46
	s_mul_hi_u32 s47, s13, s20
	s_addc_u32 s41, s41, s45
	;; [unrolled: 4-line block ×4, first 2 shown]
	s_mul_i32 s40, s25, s86
	s_add_u32 s23, s23, s38
	s_addc_u32 s22, s22, s35
	s_add_u32 s23, s23, s40
	s_addc_u32 s22, s22, s39
	s_mul_i32 s11, s2, 0x3d10
	s_add_u32 s23, s23, s28
	s_mul_hi_u32 s10, s2, 0x3d10
	s_addc_u32 s22, s22, s29
	s_add_u32 s11, s23, s11
	s_addc_u32 s22, s22, s10
	v_writelane_b32 v20, s57, 10
	s_add_u32 s10, s11, s14
	s_addc_u32 s11, s22, s15
	s_lshl_b64 s[28:29], s[2:3], 10
	s_mul_i32 s2, s27, s87
	s_mul_hi_u32 s38, s25, s87
	s_mul_i32 s51, s17, s54
	s_mul_i32 s52, s18, s33
	s_lshr_b64 s[14:15], s[10:11], 26
	s_add_i32 s38, s38, s2
	s_mul_hi_u32 s2, s17, s54
	s_mul_hi_u32 s53, s18, s33
	s_add_u32 s51, s52, s51
	v_writelane_b32 v20, s83, 11
	s_addc_u32 s2, s53, s2
	s_add_u32 s36, s51, s36
	s_addc_u32 s37, s2, s37
	s_mul_i32 s42, s0, s86
	s_mul_i32 s44, s1, s78
	s_mul_hi_u32 s41, s0, s86
	s_mul_hi_u32 s43, s1, s78
	s_and_b32 s2, s36, 0x3ffffff
	s_lshr_b64 s[36:37], s[36:37], 26
	v_writelane_b32 v20, s87, 12
	s_mul_i32 s46, s12, s56
	s_add_u32 s42, s44, s42
	s_mul_hi_u32 s45, s12, s56
	s_addc_u32 s41, s43, s41
	s_mul_i32 s48, s13, s61
	s_add_u32 s42, s42, s46
	s_mul_hi_u32 s47, s13, s61
	s_addc_u32 s41, s41, s45
	s_mul_i32 s50, s16, s20
	s_add_u32 s42, s42, s48
	v_writelane_b32 v20, s86, 13
	s_mul_hi_u32 s49, s16, s20
	s_addc_u32 s41, s41, s47
	s_mul_i32 s23, s24, s57
	s_add_u32 s42, s42, s50
	s_mul_hi_u32 s22, s24, s57
	s_addc_u32 s41, s41, s49
	s_mul_i32 s39, s26, s83
	s_add_u32 s23, s42, s23
	s_mul_hi_u32 s35, s26, s83
	s_addc_u32 s22, s41, s22
	v_writelane_b32 v20, s78, 14
	s_mul_i32 s40, s25, s87
	s_add_u32 s23, s23, s39
	s_addc_u32 s22, s22, s35
	s_add_u32 s23, s23, s40
	s_mul_hi_u32 s35, s0, s87
	s_mul_i32 s40, s0, s87
	s_mov_b32 s0, s56
	s_addc_u32 s22, s22, s38
	s_mul_hi_u32 s41, s1, s86
	s_mul_i32 s42, s1, s86
	v_writelane_b32 v20, s0, 15
	s_mul_i32 s52, s2, 0x3d10
	s_add_u32 s23, s23, s28
	s_mul_hi_u32 s51, s2, 0x3d10
	s_addc_u32 s22, s22, s29
	s_add_u32 s23, s23, s52
	s_addc_u32 s22, s22, s51
	s_add_u32 s14, s23, s14
	v_writelane_b32 v20, s1, 16
	s_addc_u32 s15, s22, s15
	s_lshl_b64 s[38:39], s[2:3], 10
	s_mul_i32 s27, s27, s83
	s_mul_hi_u32 s2, s25, s83
	s_mul_i32 s0, s18, s54
	s_add_i32 s27, s2, s27
	s_mov_b32 s2, s54
	s_lshr_b64 s[28:29], s[14:15], 26
	v_writelane_b32 v20, s2, 17
	s_mul_hi_u32 s1, s18, s54
	s_add_u32 s0, s36, s0
	s_addc_u32 s1, s37, s1
	s_mul_hi_u32 s43, s12, s78
	s_mul_i32 s44, s12, s78
	s_mul_hi_u32 s45, s13, s56
	s_mul_i32 s46, s13, s56
	v_writelane_b32 v20, s3, 18
	s_and_b32 s2, s0, 0x3ffffff
	s_lshr_b64 s[12:13], s[0:1], 26
	s_add_u32 s37, s42, s40
	s_addc_u32 s35, s41, s35
	s_add_u32 s37, s37, s44
	s_addc_u32 s35, s35, s43
	s_mul_hi_u32 s47, s16, s61
	s_mul_i32 s16, s16, s61
	s_add_u32 s37, s37, s46
	s_addc_u32 s35, s35, s45
	s_mul_hi_u32 s48, s17, s20
	s_mul_i32 s17, s17, s20
	;; [unrolled: 4-line block ×4, first 2 shown]
	s_add_u32 s16, s16, s24
	s_addc_u32 s17, s17, s22
	s_mul_i32 s25, s25, s83
	s_add_u32 s16, s16, s26
	s_addc_u32 s17, s17, s23
	s_add_u32 s16, s16, s25
	v_alignbit_b32 v0, s1, s0, 26
	s_addc_u32 s17, s17, s27
	s_mul_i32 s36, s2, 0x3d10
	s_add_u32 s16, s16, s38
	s_mul_hi_u32 s18, s2, 0x3d10
	s_addc_u32 s0, s17, s39
	s_add_u32 s1, s16, s36
	s_addc_u32 s0, s0, s18
	v_readfirstlane_b32 s18, v0
	s_add_u32 s26, s1, s28
	s_addc_u32 s27, s0, s29
	s_lshl_b64 s[16:17], s[2:3], 10
	s_lshr_b64 s[0:1], s[26:27], 26
	s_mul_i32 s2, s18, 0x3d10
	s_mul_hi_u32 s18, s18, 0x3d10
	s_add_u32 s2, s2, s19
	s_addc_u32 s18, s18, 0
	s_add_u32 s2, s2, s16
	s_addc_u32 s16, s18, s17
	s_add_u32 s28, s2, s0
	s_addc_u32 s29, s16, s1
	s_lshl_b64 s[12:13], s[12:13], 14
	s_lshr_b64 s[0:1], s[28:29], 22
	s_mov_b64 s[42:43], s[8:9]
	s_add_u32 s0, s0, s12
	s_addc_u32 s1, s1, s13
	s_mul_hi_u32 s12, s0, 0x3d1
	s_mul_i32 s2, s1, 0x3d1
	s_mul_i32 s13, s0, 0x3d1
	s_add_i32 s12, s12, s2
	s_add_u32 s16, s13, s30
	s_addc_u32 s17, s12, 0
	s_lshl_b64 s[0:1], s[0:1], 6
	s_lshr_b64 s[12:13], s[16:17], 26
	s_add_u32 s0, s0, s31
	s_addc_u32 s1, s1, 0
	s_add_u32 s24, s0, s12
	s_addc_u32 s25, s1, s13
	s_mov_b64 s[46:47], s[16:17]
	s_lshr_b64 s[0:1], s[24:25], 26
	s_mov_b32 s1, 3
	s_add_u32 s12, s0, s34
	s_mov_b64 s[44:45], s[24:25]
	s_mov_b32 s0, s12
	s_mov_b64 s[34:35], s[4:5]
	v_writelane_b32 v20, s0, 19
	s_mov_b64 s[30:31], s[6:7]
	s_mov_b64 s[40:41], s[10:11]
	;; [unrolled: 1-line block ×5, first 2 shown]
	v_writelane_b32 v20, s1, 20
.LBB0_3:                                ; =>This Inner Loop Header: Depth=1
	s_lshl_b32 s18, s46, 1
	s_lshl_b32 s22, s34, 1
	;; [unrolled: 1-line block ×4, first 2 shown]
	s_and_b32 s13, s40, 0x3ffffff
	s_and_b32 s2, s42, 0x3ffffff
	;; [unrolled: 1-line block ×5, first 2 shown]
	s_lshl_b32 s9, s12, 1
	s_and_b32 s11, s38, 0x3ffffff
	s_and_b32 s19, s19, 0x7fffffe
	s_mul_i32 s78, s13, s18
	s_mul_i32 s80, s22, s2
	s_and_b32 s5, s48, 0x3fffff
	s_and_b32 s7, s36, 0x3ffffff
	s_mul_hi_u32 s71, s13, s18
	s_mul_hi_u32 s79, s22, s2
	s_mul_i32 s63, s11, s9
	s_mul_hi_u32 s75, s2, s2
	s_mul_i32 s76, s2, s2
	;; [unrolled: 2-line block ×6, first 2 shown]
	s_add_u32 s2, s78, s80
	s_mul_hi_u32 s77, s11, s9
	s_addc_u32 s71, s71, s79
	s_mul_i32 s70, s7, s19
	s_add_u32 s2, s2, s63
	s_mul_hi_u32 s69, s7, s19
	s_addc_u32 s63, s71, s77
	s_mul_i32 s62, s5, s25
	s_add_u32 s2, s2, s70
	s_mul_hi_u32 s23, s5, s25
	s_addc_u32 s63, s63, s69
	s_add_u32 s78, s2, s62
	s_addc_u32 s79, s63, s23
	s_mul_i32 s86, s13, s22
	s_and_b32 s2, s46, 0x3ffffff
	s_mul_hi_u32 s85, s13, s22
	s_and_b32 s46, s78, 0x3fffffe
	s_lshr_b64 s[78:79], s[78:79], 26
	s_mul_i32 s84, s11, s18
	s_mul_hi_u32 s23, s2, s2
	s_mul_i32 s62, s2, s2
	s_add_u32 s2, s86, s76
	s_mul_hi_u32 s83, s11, s18
	s_addc_u32 s63, s85, s75
	s_mul_i32 s72, s7, s9
	s_add_u32 s2, s2, s84
	s_mul_hi_u32 s59, s7, s9
	s_addc_u32 s63, s63, s83
	;; [unrolled: 4-line block ×3, first 2 shown]
	s_add_u32 s2, s2, s82
	s_addc_u32 s59, s59, s81
	s_add_u32 s76, s2, s78
	s_addc_u32 s77, s59, s79
	s_and_b32 s2, s76, 0x3ffffff
	s_lshr_b64 s[76:77], s[76:77], 26
	s_mul_i32 s59, s2, 0x3d10
	s_mul_hi_u32 s63, s2, 0x3d10
	s_add_u32 s78, s59, s62
	s_addc_u32 s79, s63, s23
	s_lshl_b32 s23, s42, 1
	s_lshl_b64 s[80:81], s[2:3], 10
	s_and_b32 s2, s44, 0x3ffffff
	s_and_b32 s23, s23, 0x7fffffe
	s_mul_hi_u32 s31, s13, s13
	s_mul_i32 s35, s13, s13
	s_mul_hi_u32 s37, s13, s9
	s_mul_i32 s45, s13, s9
	s_mul_i32 s90, s11, s22
	s_mul_hi_u32 s68, s13, s25
	s_mul_i32 s102, s13, s25
	s_mul_hi_u32 s73, s13, s19
	;; [unrolled: 2-line block ×6, first 2 shown]
	s_and_b32 s44, s78, 0x3fffffd
	s_lshr_b64 s[78:79], s[78:79], 26
	s_mul_i32 s88, s7, s18
	s_add_u32 s13, s90, s13
	s_mul_hi_u32 s87, s7, s18
	s_addc_u32 s2, s89, s2
	s_mul_i32 s57, s5, s9
	s_add_u32 s13, s13, s88
	s_mul_hi_u32 s43, s5, s9
	s_addc_u32 s2, s2, s87
	s_add_u32 s13, s13, s57
	s_addc_u32 s2, s2, s43
	s_add_u32 s42, s13, s76
	s_addc_u32 s43, s2, s77
	s_and_b32 s2, s42, 0x3ffffff
	s_lshr_b64 s[42:43], s[42:43], 26
	s_add_u32 s62, s80, s62
	s_addc_u32 s59, s81, s59
	s_mul_i32 s57, s2, 0x3d10
	s_add_u32 s62, s62, s78
	s_mul_hi_u32 s13, s2, 0x3d10
	s_addc_u32 s59, s59, s79
	s_add_u32 s76, s62, s57
	s_addc_u32 s77, s59, s13
	s_mul_i32 s71, s11, s23
	s_mul_hi_u32 s70, s11, s23
	s_lshl_b64 s[78:79], s[2:3], 10
	s_and_b32 s13, s76, 0x3ffffff
	s_lshr_b64 s[76:77], s[76:77], 26
	s_mul_i32 s96, s7, s22
	s_add_u32 s2, s71, s35
	s_mul_hi_u32 s95, s7, s22
	s_addc_u32 s31, s70, s31
	s_mul_i32 s94, s5, s18
	s_add_u32 s2, s2, s96
	s_mul_hi_u32 s93, s5, s18
	s_addc_u32 s31, s31, s95
	s_add_u32 s2, s2, s94
	s_addc_u32 s31, s31, s93
	s_add_u32 s42, s2, s42
	s_addc_u32 s43, s31, s43
	s_mul_i32 s92, s12, s25
	s_mul_hi_u32 s91, s12, s25
	s_and_b32 s2, s42, 0x3ffffff
	s_lshr_b64 s[42:43], s[42:43], 26
	s_add_u32 s57, s92, s69
	s_addc_u32 s59, s91, s63
	s_mul_i32 s35, s2, 0x3d10
	s_add_u32 s57, s57, s78
	s_mul_hi_u32 s31, s2, 0x3d10
	s_addc_u32 s59, s59, s79
	s_add_u32 s35, s57, s35
	s_addc_u32 s31, s59, s31
	s_add_u32 s76, s35, s76
	s_addc_u32 s77, s31, s77
	s_lshl_b32 s31, s40, 1
	s_lshl_b64 s[78:79], s[2:3], 10
	s_and_b32 s2, s34, 0x3ffffff
	s_and_b32 s31, s31, 0x7fffffe
	s_mul_hi_u32 s27, s11, s11
	s_mul_i32 s29, s11, s11
	s_mul_hi_u32 s58, s11, s25
	s_mul_i32 s60, s11, s25
	;; [unrolled: 2-line block ×3, first 2 shown]
	s_mul_i32 s75, s7, s23
	s_mul_hi_u32 s40, s2, s25
	s_mul_i32 s59, s2, s25
	s_mul_hi_u32 s62, s2, s19
	;; [unrolled: 2-line block ×6, first 2 shown]
	s_and_b32 s57, s76, 0x3ffffff
	s_lshr_b64 s[34:35], s[76:77], 26
	s_mul_hi_u32 s99, s5, s22
	s_mul_i32 s22, s5, s22
	s_add_u32 s11, s75, s11
	s_addc_u32 s2, s72, s2
	s_add_u32 s11, s11, s22
	s_addc_u32 s2, s2, s99
	;; [unrolled: 2-line block ×3, first 2 shown]
	s_mul_i32 s98, s19, s12
	s_mul_hi_u32 s97, s19, s12
	s_and_b32 s2, s42, 0x3ffffff
	s_lshr_b64 s[42:43], s[42:43], 26
	s_mul_hi_u32 s81, s7, s31
	s_mul_i32 s83, s7, s31
	s_mul_hi_u32 s84, s5, s31
	s_mul_i32 s85, s5, s31
	s_add_u32 s31, s59, s98
	s_addc_u32 s40, s40, s97
	s_mul_i32 s22, s2, 0x3d10
	s_add_u32 s31, s31, s78
	s_mul_hi_u32 s11, s2, 0x3d10
	s_addc_u32 s40, s40, s79
	s_add_u32 s22, s31, s22
	s_addc_u32 s11, s40, s11
	s_add_u32 s34, s22, s34
	s_addc_u32 s35, s11, s35
	s_lshl_b64 s[76:77], s[2:3], 10
	s_and_b32 s2, s30, 0x3ffffff
	s_lshr_b64 s[30:31], s[34:35], 26
	s_mul_hi_u32 s15, s12, s12
	s_mul_i32 s17, s12, s12
	s_mul_hi_u32 s12, s7, s25
	s_mul_i32 s51, s7, s25
	;; [unrolled: 2-line block ×8, first 2 shown]
	s_add_u32 s2, s83, s29
	s_addc_u32 s18, s81, s27
	s_add_u32 s2, s2, s23
	s_addc_u32 s19, s18, s82
	;; [unrolled: 2-line block ×3, first 2 shown]
	s_and_b32 s2, s18, 0x3ffffff
	s_lshr_b64 s[18:19], s[18:19], 26
	s_add_u32 s17, s63, s17
	s_addc_u32 s15, s62, s15
	s_add_u32 s17, s17, s22
	s_addc_u32 s11, s15, s11
	s_mul_i32 s27, s2, 0x3d10
	s_add_u32 s15, s17, s76
	s_mul_hi_u32 s23, s2, 0x3d10
	s_addc_u32 s11, s11, s77
	s_add_u32 s15, s15, s27
	s_addc_u32 s11, s11, s23
	s_add_u32 s30, s15, s30
	s_addc_u32 s31, s11, s31
	s_lshl_b32 s11, s38, 1
	s_lshl_b64 s[42:43], s[2:3], 10
	s_and_b32 s2, s11, 0x7fffffe
	s_mul_hi_u32 s39, s7, s7
	s_mul_i32 s41, s7, s7
	s_mul_hi_u32 s11, s2, s7
	s_mul_i32 s7, s2, s7
	s_lshr_b64 s[76:77], s[30:31], 26
	s_mul_hi_u32 s15, s5, s2
	s_mul_i32 s17, s5, s2
	s_add_u32 s2, s85, s7
	s_addc_u32 s7, s84, s11
	s_add_u32 s18, s2, s18
	s_addc_u32 s19, s7, s19
	s_and_b32 s2, s18, 0x3ffffff
	s_lshr_b64 s[18:19], s[18:19], 26
	s_add_u32 s22, s35, s70
	s_addc_u32 s23, s25, s69
	s_add_u32 s22, s22, s101
	s_addc_u32 s23, s23, s100
	s_mul_i32 s11, s2, 0x3d10
	s_add_u32 s22, s22, s42
	s_mul_hi_u32 s7, s2, 0x3d10
	s_addc_u32 s23, s23, s43
	s_add_u32 s11, s22, s11
	s_addc_u32 s7, s23, s7
	s_add_u32 s42, s11, s76
	s_addc_u32 s43, s7, s77
	s_lshl_b64 s[76:77], s[2:3], 10
	s_lshr_b64 s[78:79], s[42:43], 26
	s_add_u32 s2, s17, s41
	s_addc_u32 s7, s15, s39
	s_add_u32 s18, s2, s18
	s_addc_u32 s19, s7, s19
	s_and_b32 s2, s18, 0x3ffffff
	s_lshr_b64 s[18:19], s[18:19], 26
	s_add_u32 s9, s9, s80
	s_addc_u32 s15, s40, s71
	s_add_u32 s9, s9, s104
	s_addc_u32 s15, s15, s103
	;; [unrolled: 2-line block ×3, first 2 shown]
	s_mul_i32 s11, s2, 0x3d10
	s_add_u32 s9, s9, s76
	s_mul_hi_u32 s7, s2, 0x3d10
	s_addc_u32 s15, s15, s77
	s_add_u32 s9, s9, s11
	s_addc_u32 s7, s15, s7
	s_add_u32 s40, s9, s78
	s_addc_u32 s41, s7, s79
	s_lshl_b32 s7, s36, 1
	s_lshl_b64 s[38:39], s[2:3], 10
	s_and_b32 s2, s7, 0x7fffffe
	s_lshr_b64 s[68:69], s[40:41], 26
	s_mul_i32 s7, s2, s5
	s_mul_hi_u32 s2, s2, s5
	s_add_u32 s18, s18, s7
	s_addc_u32 s19, s19, s2
	s_and_b32 s2, s18, 0x3ffffff
	s_lshr_b64 s[18:19], s[18:19], 26
	s_add_u32 s9, s48, s72
	s_addc_u32 s11, s47, s59
	s_add_u32 s9, s9, s74
	s_addc_u32 s11, s11, s73
	;; [unrolled: 2-line block ×3, first 2 shown]
	s_mul_i32 s7, s2, 0x3d10
	s_add_u32 s9, s9, s38
	s_mul_hi_u32 s49, s5, s5
	s_mul_i32 s50, s5, s5
	s_mul_hi_u32 s5, s2, 0x3d10
	s_addc_u32 s11, s11, s39
	s_add_u32 s7, s9, s7
	s_addc_u32 s5, s11, s5
	s_add_u32 s38, s7, s68
	s_addc_u32 s39, s5, s69
	s_lshl_b64 s[58:59], s[2:3], 10
	s_lshr_b64 s[68:69], s[38:39], 26
	s_add_u32 s18, s18, s50
	s_addc_u32 s19, s19, s49
	s_and_b32 s2, s18, 0x3ffffff
	s_lshr_b64 s[72:73], s[18:19], 26
	s_add_u32 s9, s55, s86
	s_addc_u32 s11, s54, s75
	s_add_u32 s9, s9, s45
	s_addc_u32 s11, s11, s37
	v_alignbit_b32 v0, s19, s18, 26
	s_add_u32 s9, s9, s53
	s_addc_u32 s11, s11, s52
	s_add_u32 s9, s9, s51
	s_addc_u32 s11, s11, s12
	s_mul_i32 s7, s2, 0x3d10
	s_add_u32 s9, s9, s58
	s_mul_hi_u32 s5, s2, 0x3d10
	v_readfirstlane_b32 s15, v0
	s_addc_u32 s11, s11, s59
	s_add_u32 s7, s9, s7
	s_addc_u32 s5, s11, s5
	s_add_u32 s36, s7, s68
	s_addc_u32 s37, s5, s69
	s_mul_hi_u32 s12, s15, 0x3d10
	s_mulk_i32 s15, 0x3d10
	s_lshl_b64 s[18:19], s[2:3], 10
	s_lshr_b64 s[48:49], s[36:37], 26
	s_add_u32 s2, s15, s46
	s_addc_u32 s5, s12, 0
	s_add_u32 s2, s2, s18
	s_addc_u32 s5, s5, s19
	;; [unrolled: 2-line block ×3, first 2 shown]
	s_lshl_b64 s[18:19], s[72:73], 14
	s_lshr_b64 s[46:47], s[48:49], 22
	s_delay_alu instid0(SALU_CYCLE_1)
	s_add_u32 s18, s46, s18
	s_addc_u32 s19, s47, s19
	s_mul_hi_u32 s2, s18, 0x3d1
	s_mul_i32 s5, s19, 0x3d1
	s_mul_i32 s7, s18, 0x3d1
	s_add_i32 s2, s2, s5
	s_add_u32 s46, s7, s44
	s_addc_u32 s47, s2, 0
	s_lshl_b64 s[18:19], s[18:19], 6
	s_lshr_b64 s[44:45], s[46:47], 26
	s_add_u32 s2, s18, s13
	s_addc_u32 s5, s19, 0
	s_add_u32 s44, s2, s44
	s_addc_u32 s45, s5, s45
	s_add_i32 s1, s1, -1
	s_lshr_b64 s[12:13], s[44:45], 26
	s_delay_alu instid0(SALU_CYCLE_1)
	s_add_u32 s12, s12, s57
	s_cmp_lg_u32 s1, 0
	s_cbranch_scc1 .LBB0_3
; %bb.4:
	s_and_b32 s18, s34, 0x3ffffff
	s_and_b32 s73, s10, 0x3ffffff
	;; [unrolled: 1-line block ×4, first 2 shown]
	s_mul_i32 s8, s18, s73
	s_and_b32 s25, s42, 0x3ffffff
	s_and_b32 s75, s6, 0x3ffffff
	s_mul_i32 s6, s19, s74
	s_and_b32 s13, s46, 0x3ffffff
	s_and_b32 s21, s28, 0x3fffff
	;; [unrolled: 1-line block ×5, first 2 shown]
	s_mul_hi_u32 s14, s18, s73
	s_mul_hi_u32 s15, s19, s74
	s_and_b32 s26, s40, 0x3ffffff
	s_and_b32 s76, s4, 0x3ffffff
	;; [unrolled: 1-line block ×3, first 2 shown]
	v_readlane_b32 s0, v20, 19
	s_and_b32 s28, s36, 0x3ffffff
	s_and_b32 s77, s24, 0x3ffffff
	s_and_b32 s24, s48, 0x3fffff
	s_and_b32 s78, s16, 0x3ffffff
	s_mul_i32 s4, s25, s75
	s_add_u32 s6, s6, s8
	s_mul_hi_u32 s22, s25, s75
	s_addc_u32 s8, s15, s14
	s_mul_i32 s29, s26, s76
	s_add_u32 s4, s6, s4
	s_mul_hi_u32 s23, s26, s76
	s_addc_u32 s6, s8, s22
	;; [unrolled: 4-line block ×8, first 2 shown]
	s_add_u32 s4, s4, s10
	s_addc_u32 s5, s2, s11
	s_mul_i32 s14, s18, s72
	s_mul_i32 s22, s19, s73
	s_and_b32 s16, s4, 0x3ffffff
	s_lshr_b64 s[4:5], s[4:5], 26
	s_mul_hi_u32 s11, s18, s72
	s_mul_hi_u32 s15, s19, s73
	s_mul_i32 s29, s25, s74
	s_add_u32 s14, s22, s14
	s_mul_hi_u32 s23, s25, s74
	s_addc_u32 s11, s15, s11
	s_mul_i32 s31, s26, s75
	s_add_u32 s14, s14, s29
	s_mul_hi_u32 s30, s26, s75
	s_addc_u32 s11, s11, s23
	s_mul_i32 s35, s27, s76
	s_add_u32 s14, s14, s31
	s_mul_hi_u32 s34, s27, s76
	s_addc_u32 s11, s11, s30
	s_mul_i32 s37, s28, s0
	s_add_u32 s14, s14, s35
	s_mul_hi_u32 s36, s28, s0
	s_addc_u32 s11, s11, s34
	s_mul_i32 s39, s24, s77
	s_add_u32 s14, s14, s37
	s_mul_hi_u32 s38, s24, s77
	s_addc_u32 s11, s11, s36
	s_mul_i32 s8, s17, s21
	s_add_u32 s14, s14, s39
	s_mul_hi_u32 s2, s17, s21
	s_addc_u32 s11, s11, s38
	s_mul_i32 s10, s12, s56
	s_add_u32 s8, s14, s8
	s_mul_hi_u32 s9, s12, s56
	s_addc_u32 s2, s11, s2
	s_add_u32 s8, s8, s10
	s_addc_u32 s2, s2, s9
	s_add_u32 s4, s8, s4
	s_addc_u32 s5, s2, s5
	s_and_b32 s2, s4, 0x3ffffff
	s_mul_i32 s6, s13, s78
	s_mul_i32 s8, s2, 0x3d10
	s_mul_hi_u32 s7, s13, s78
	s_lshr_b64 s[4:5], s[4:5], 26
	s_mul_hi_u32 s9, s2, 0x3d10
	s_add_u32 s6, s8, s6
	s_mov_b32 s3, 0
	s_addc_u32 s7, s9, s7
	s_mul_i32 s30, s18, s56
	s_mul_i32 s34, s19, s72
	s_and_b32 s29, s6, 0x3ffffff
	s_lshr_b64 s[6:7], s[6:7], 26
	s_lshl_b64 s[8:9], s[2:3], 10
	s_mul_hi_u32 s23, s18, s56
	s_mul_hi_u32 s31, s19, s72
	s_mul_i32 s36, s25, s73
	s_add_u32 s30, s34, s30
	s_mul_hi_u32 s35, s25, s73
	s_addc_u32 s23, s31, s23
	s_mul_i32 s38, s26, s74
	s_add_u32 s30, s30, s36
	s_mul_hi_u32 s37, s26, s74
	s_addc_u32 s23, s23, s35
	s_mul_i32 s40, s27, s75
	s_add_u32 s30, s30, s38
	s_mul_hi_u32 s39, s27, s75
	s_addc_u32 s23, s23, s37
	s_mul_i32 s42, s28, s76
	s_add_u32 s30, s30, s40
	s_mul_hi_u32 s41, s28, s76
	s_addc_u32 s23, s23, s39
	s_mul_i32 s44, s24, s0
	s_add_u32 s30, s30, s42
	s_mul_hi_u32 s43, s24, s0
	s_addc_u32 s23, s23, s41
	s_mul_i32 s22, s12, s21
	s_add_u32 s30, s30, s44
	s_mul_hi_u32 s2, s12, s21
	s_addc_u32 s23, s23, s43
	s_add_u32 s22, s30, s22
	s_addc_u32 s2, s23, s2
	s_add_u32 s4, s22, s4
	s_addc_u32 s5, s2, s5
	s_mul_i32 s11, s13, s77
	s_mul_i32 s15, s17, s78
	s_mul_hi_u32 s10, s13, s77
	s_mul_hi_u32 s14, s17, s78
	s_and_b32 s2, s4, 0x3ffffff
	s_lshr_b64 s[4:5], s[4:5], 26
	s_add_u32 s11, s15, s11
	s_addc_u32 s10, s14, s10
	s_add_u32 s8, s11, s8
	s_addc_u32 s9, s10, s9
	s_mul_i32 s23, s2, 0x3d10
	s_add_u32 s6, s8, s6
	s_mul_hi_u32 s22, s2, 0x3d10
	s_addc_u32 s7, s9, s7
	s_add_u32 s6, s6, s23
	s_addc_u32 s7, s7, s22
	s_mul_i32 s31, s18, s21
	s_mul_i32 s35, s19, s56
	s_and_b32 s30, s6, 0x3ffffff
	s_lshr_b64 s[6:7], s[6:7], 26
	s_lshl_b64 s[8:9], s[2:3], 10
	s_mul_hi_u32 s2, s18, s21
	s_mul_hi_u32 s34, s19, s56
	s_mul_i32 s37, s25, s72
	s_add_u32 s31, s35, s31
	s_mul_hi_u32 s36, s25, s72
	s_addc_u32 s2, s34, s2
	s_mul_i32 s39, s26, s73
	s_add_u32 s31, s31, s37
	s_mul_hi_u32 s38, s26, s73
	s_addc_u32 s2, s2, s36
	s_mul_i32 s41, s27, s74
	s_add_u32 s31, s31, s39
	s_mul_hi_u32 s40, s27, s74
	s_addc_u32 s2, s2, s38
	s_mul_i32 s43, s28, s75
	s_add_u32 s31, s31, s41
	s_mul_hi_u32 s42, s28, s75
	s_addc_u32 s2, s2, s40
	s_mul_i32 s45, s24, s76
	s_add_u32 s31, s31, s43
	s_mul_hi_u32 s44, s24, s76
	s_addc_u32 s2, s2, s42
	s_add_u32 s31, s31, s45
	s_addc_u32 s2, s2, s44
	s_add_u32 s4, s31, s4
	s_addc_u32 s5, s2, s5
	s_mul_i32 s11, s13, s0
	s_mul_i32 s15, s17, s77
	s_mul_hi_u32 s10, s13, s0
	s_mul_hi_u32 s14, s17, s77
	s_and_b32 s2, s4, 0x3ffffff
	s_lshr_b64 s[4:5], s[4:5], 26
	s_mul_i32 s23, s12, s78
	s_add_u32 s11, s15, s11
	s_mul_hi_u32 s22, s12, s78
	s_addc_u32 s10, s14, s10
	s_add_u32 s11, s11, s23
	s_addc_u32 s10, s10, s22
	s_mul_i32 s34, s2, 0x3d10
	s_add_u32 s8, s11, s8
	s_mul_hi_u32 s31, s2, 0x3d10
	s_addc_u32 s9, s10, s9
	s_add_u32 s8, s8, s34
	s_addc_u32 s9, s9, s31
	s_add_u32 s6, s8, s6
	s_addc_u32 s7, s9, s7
	s_mul_i32 s10, s19, s21
	s_mul_i32 s38, s25, s56
	s_and_b32 s31, s6, 0x3ffffff
	s_lshr_b64 s[6:7], s[6:7], 26
	s_lshl_b64 s[8:9], s[2:3], 10
	s_mul_hi_u32 s2, s19, s21
	s_mul_hi_u32 s11, s25, s56
	s_mul_i32 s40, s26, s72
	s_add_u32 s10, s38, s10
	s_mul_hi_u32 s39, s26, s72
	s_addc_u32 s2, s11, s2
	s_mul_i32 s42, s27, s73
	s_add_u32 s10, s10, s40
	s_mul_hi_u32 s41, s27, s73
	s_addc_u32 s2, s2, s39
	;; [unrolled: 4-line block ×4, first 2 shown]
	s_add_u32 s10, s10, s46
	s_addc_u32 s2, s2, s45
	s_add_u32 s4, s10, s4
	s_addc_u32 s5, s2, s5
	s_mul_i32 s15, s13, s76
	s_mul_i32 s37, s18, s78
	s_mul_hi_u32 s14, s13, s76
	s_mul_hi_u32 s36, s18, s78
	s_and_b32 s2, s4, 0x3ffffff
	s_lshr_b64 s[10:11], s[4:5], 26
	s_mul_i32 s23, s17, s0
	s_add_u32 s15, s15, s37
	s_mul_hi_u32 s22, s17, s0
	s_addc_u32 s14, s14, s36
	s_mul_i32 s35, s12, s77
	s_add_u32 s15, s15, s23
	s_mul_hi_u32 s34, s12, s77
	s_addc_u32 s14, s14, s22
	s_add_u32 s15, s15, s35
	s_addc_u32 s14, s14, s34
	s_mul_i32 s5, s2, 0x3d10
	s_add_u32 s8, s15, s8
	s_mul_hi_u32 s4, s2, 0x3d10
	s_addc_u32 s9, s14, s9
	s_add_u32 s5, s8, s5
	s_addc_u32 s8, s9, s4
	s_add_u32 s4, s5, s6
	s_addc_u32 s5, s8, s7
	s_mul_i32 s39, s25, s21
	s_mul_i32 s41, s26, s56
	s_lshr_b64 s[6:7], s[4:5], 26
	s_lshl_b64 s[8:9], s[2:3], 10
	s_mul_hi_u32 s2, s25, s21
	s_mul_hi_u32 s40, s26, s56
	s_mul_i32 s43, s27, s72
	s_add_u32 s39, s41, s39
	s_mul_hi_u32 s42, s27, s72
	s_addc_u32 s2, s40, s2
	s_mul_i32 s45, s28, s73
	s_add_u32 s39, s39, s43
	s_mul_hi_u32 s44, s28, s73
	s_addc_u32 s2, s2, s42
	;; [unrolled: 4-line block ×3, first 2 shown]
	s_add_u32 s39, s39, s47
	s_addc_u32 s2, s2, s46
	s_add_u32 s10, s39, s10
	s_addc_u32 s11, s2, s11
	s_mul_i32 s36, s18, s77
	s_mul_i32 s38, s19, s78
	s_mul_hi_u32 s35, s18, s77
	s_mul_hi_u32 s37, s19, s78
	s_and_b32 s2, s10, 0x3ffffff
	s_lshr_b64 s[10:11], s[10:11], 26
	s_mul_i32 s14, s13, s75
	s_add_u32 s36, s38, s36
	s_mul_hi_u32 s5, s13, s75
	s_addc_u32 s35, s37, s35
	s_mul_i32 s22, s17, s76
	s_add_u32 s14, s36, s14
	s_mul_hi_u32 s15, s17, s76
	s_addc_u32 s5, s35, s5
	;; [unrolled: 4-line block ×3, first 2 shown]
	s_add_u32 s14, s14, s34
	s_addc_u32 s5, s5, s23
	s_mul_i32 s40, s2, 0x3d10
	s_add_u32 s8, s14, s8
	s_mul_hi_u32 s39, s2, 0x3d10
	s_addc_u32 s5, s5, s9
	s_add_u32 s8, s8, s40
	s_addc_u32 s5, s5, s39
	s_add_u32 s6, s8, s6
	s_addc_u32 s7, s5, s7
	s_mul_i32 s42, s26, s21
	s_mul_i32 s44, s27, s56
	s_lshr_b64 s[8:9], s[6:7], 26
	s_lshl_b64 s[14:15], s[2:3], 10
	s_mul_hi_u32 s2, s26, s21
	s_mul_hi_u32 s43, s27, s56
	s_mul_i32 s46, s28, s72
	s_add_u32 s42, s44, s42
	s_mul_hi_u32 s45, s28, s72
	s_addc_u32 s2, s43, s2
	s_mul_i32 s48, s24, s73
	s_add_u32 s42, s42, s46
	s_mul_hi_u32 s47, s24, s73
	s_addc_u32 s2, s2, s45
	s_add_u32 s42, s42, s48
	s_addc_u32 s2, s2, s47
	s_add_u32 s10, s42, s10
	s_addc_u32 s11, s2, s11
	s_mul_i32 s37, s18, s0
	s_mul_i32 s39, s19, s77
	s_mul_hi_u32 s36, s18, s0
	s_mul_hi_u32 s38, s19, s77
	s_and_b32 s2, s10, 0x3ffffff
	s_lshr_b64 s[10:11], s[10:11], 26
	s_mul_i32 s41, s25, s78
	s_add_u32 s37, s39, s37
	s_mul_hi_u32 s40, s25, s78
	s_addc_u32 s36, s38, s36
	s_mul_i32 s7, s13, s74
	s_add_u32 s37, s37, s41
	s_mul_hi_u32 s5, s13, s74
	s_addc_u32 s36, s36, s40
	;; [unrolled: 4-line block ×4, first 2 shown]
	s_add_u32 s7, s7, s35
	s_addc_u32 s5, s5, s34
	s_mul_i32 s43, s2, 0x3d10
	s_add_u32 s7, s7, s14
	s_mul_hi_u32 s42, s2, 0x3d10
	s_addc_u32 s5, s5, s15
	s_add_u32 s7, s7, s43
	s_addc_u32 s5, s5, s42
	s_add_u32 s8, s7, s8
	s_addc_u32 s9, s5, s9
	s_mul_i32 s36, s27, s21
	s_mul_i32 s47, s28, s56
	s_lshr_b64 s[14:15], s[8:9], 26
	s_lshl_b64 s[34:35], s[2:3], 10
	s_mul_hi_u32 s2, s27, s21
	s_mul_hi_u32 s37, s28, s56
	s_mul_i32 s49, s24, s72
	s_add_u32 s36, s47, s36
	s_mul_hi_u32 s48, s24, s72
	s_addc_u32 s2, s37, s2
	s_add_u32 s36, s36, s49
	s_addc_u32 s2, s2, s48
	s_add_u32 s10, s36, s10
	s_addc_u32 s11, s2, s11
	s_mul_i32 s40, s18, s76
	s_mul_i32 s42, s19, s0
	s_mul_hi_u32 s39, s18, s76
	s_mul_hi_u32 s41, s19, s0
	s_and_b32 s2, s10, 0x3ffffff
	s_lshr_b64 s[36:37], s[10:11], 26
	s_mul_i32 s44, s25, s77
	s_add_u32 s40, s42, s40
	s_mul_hi_u32 s43, s25, s77
	s_addc_u32 s39, s41, s39
	s_mul_i32 s46, s26, s78
	s_add_u32 s40, s40, s44
	s_mul_hi_u32 s45, s26, s78
	s_addc_u32 s39, s39, s43
	s_mul_i32 s7, s13, s73
	s_add_u32 s40, s40, s46
	s_mul_hi_u32 s5, s13, s73
	s_addc_u32 s39, s39, s45
	s_mul_i32 s22, s17, s74
	s_add_u32 s7, s40, s7
	s_mul_hi_u32 s9, s17, s74
	s_addc_u32 s5, s39, s5
	s_mul_i32 s38, s12, s75
	s_add_u32 s7, s7, s22
	s_mul_hi_u32 s23, s12, s75
	s_addc_u32 s5, s5, s9
	s_add_u32 s7, s7, s38
	s_addc_u32 s5, s5, s23
	s_mul_i32 s11, s2, 0x3d10
	s_add_u32 s7, s7, s34
	s_mul_hi_u32 s10, s2, 0x3d10
	s_addc_u32 s5, s5, s35
	s_add_u32 s7, s7, s11
	s_addc_u32 s5, s5, s10
	s_add_u32 s10, s7, s14
	s_addc_u32 s11, s5, s15
	s_mul_i32 s48, s28, s21
	s_mul_i32 s49, s24, s56
	s_lshr_b64 s[14:15], s[10:11], 26
	s_lshl_b64 s[34:35], s[2:3], 10
	s_mul_hi_u32 s2, s28, s21
	s_mul_hi_u32 s50, s24, s56
	s_add_u32 s48, s49, s48
	s_addc_u32 s2, s50, s2
	s_add_u32 s36, s48, s36
	s_addc_u32 s37, s2, s37
	s_mul_i32 s39, s18, s75
	s_mul_i32 s41, s19, s76
	s_mul_hi_u32 s38, s18, s75
	s_mul_hi_u32 s40, s19, s76
	s_and_b32 s2, s36, 0x3ffffff
	s_lshr_b64 s[36:37], s[36:37], 26
	s_mul_i32 s43, s25, s0
	s_add_u32 s39, s41, s39
	s_mul_hi_u32 s42, s25, s0
	s_addc_u32 s38, s40, s38
	s_mul_i32 s45, s26, s77
	s_add_u32 s39, s39, s43
	s_mul_hi_u32 s44, s26, s77
	s_addc_u32 s38, s38, s42
	;; [unrolled: 4-line block ×6, first 2 shown]
	s_add_u32 s7, s7, s23
	s_addc_u32 s5, s5, s22
	s_mul_i32 s49, s2, 0x3d10
	s_add_u32 s7, s7, s34
	s_mul_hi_u32 s48, s2, 0x3d10
	s_addc_u32 s5, s5, s35
	s_add_u32 s7, s7, s49
	s_addc_u32 s5, s5, s48
	s_add_u32 s14, s7, s14
	s_addc_u32 s15, s5, s15
	s_lshl_b64 s[38:39], s[2:3], 10
	s_mul_i32 s2, s24, s21
	s_lshr_b64 s[34:35], s[14:15], 26
	s_mul_hi_u32 s5, s13, s56
	s_mul_i32 s7, s13, s56
	s_mul_hi_u32 s13, s24, s21
	s_mul_hi_u32 s11, s12, s73
	s_mul_i32 s15, s12, s73
	s_add_u32 s12, s36, s2
	s_addc_u32 s13, s37, s13
	s_mul_i32 s23, s18, s74
	s_mul_i32 s41, s19, s75
	s_mul_hi_u32 s22, s18, s74
	s_mul_hi_u32 s40, s19, s75
	s_and_b32 s2, s12, 0x3ffffff
	s_lshr_b64 s[18:19], s[12:13], 26
	s_mul_hi_u32 s42, s25, s76
	s_mul_i32 s25, s25, s76
	s_add_u32 s23, s41, s23
	s_addc_u32 s22, s40, s22
	s_mul_hi_u32 s43, s26, s0
	s_mul_i32 s26, s26, s0
	s_add_u32 s23, s23, s25
	s_addc_u32 s22, s22, s42
	;; [unrolled: 4-line block ×4, first 2 shown]
	s_add_u32 s23, s23, s28
	s_addc_u32 s22, s22, s45
	s_mul_hi_u32 s9, s17, s72
	s_mul_i32 s17, s17, s72
	s_add_u32 s7, s23, s7
	s_addc_u32 s5, s22, s5
	s_add_u32 s7, s7, s17
	s_addc_u32 s5, s5, s9
	;; [unrolled: 2-line block ×3, first 2 shown]
	v_alignbit_b32 v0, s13, s12, 26
	s_mul_i32 s36, s2, 0x3d10
	s_add_u32 s7, s7, s38
	s_mul_hi_u32 s24, s2, 0x3d10
	s_addc_u32 s5, s5, s39
	s_add_u32 s7, s7, s36
	s_addc_u32 s5, s5, s24
	s_add_u32 s12, s7, s34
	v_readfirstlane_b32 s7, v0
	s_addc_u32 s13, s5, s35
	s_lshl_b64 s[26:27], s[2:3], 10
	s_lshr_b64 s[24:25], s[12:13], 26
	v_readlane_b32 s1, v20, 20
	s_mul_i32 s2, s7, 0x3d10
	s_mul_hi_u32 s5, s7, 0x3d10
	s_add_u32 s2, s2, s16
	s_addc_u32 s5, s5, 0
	s_add_u32 s2, s2, s26
	s_addc_u32 s5, s5, s27
	;; [unrolled: 2-line block ×3, first 2 shown]
	s_lshl_b64 s[18:19], s[18:19], 14
	s_lshr_b64 s[16:17], s[26:27], 22
	s_delay_alu instid0(SALU_CYCLE_1)
	s_add_u32 s16, s16, s18
	s_addc_u32 s17, s17, s19
	s_mul_hi_u32 s5, s16, 0x3d1
	s_mul_i32 s2, s17, 0x3d1
	s_mul_i32 s7, s16, 0x3d1
	s_add_i32 s5, s5, s2
	s_add_u32 s24, s7, s29
	s_addc_u32 s25, s5, 0
	s_lshl_b64 s[16:17], s[16:17], 6
	s_lshr_b64 s[18:19], s[24:25], 26
	s_add_u32 s2, s16, s30
	s_addc_u32 s5, s17, 0
	s_add_u32 s16, s2, s18
	s_addc_u32 s17, s5, s19
	s_delay_alu instid0(SALU_CYCLE_1) | instskip(NEXT) | instid1(SALU_CYCLE_1)
	s_lshr_b64 s[18:19], s[16:17], 26
	s_add_u32 s15, s18, s31
	s_mov_b32 s18, 3
.LBB0_5:                                ; =>This Inner Loop Header: Depth=1
	s_lshl_b32 s22, s24, 1
	s_lshl_b32 s25, s4, 1
	;; [unrolled: 1-line block ×4, first 2 shown]
	s_and_b32 s11, s10, 0x3ffffff
	s_and_b32 s2, s8, 0x3ffffff
	;; [unrolled: 1-line block ×6, first 2 shown]
	s_lshl_b32 s7, s15, 1
	s_and_b32 s5, s14, 0x3ffffff
	s_and_b32 s26, s23, 0x7fffffe
	s_mul_i32 s70, s11, s25
	s_mul_i32 s80, s22, s2
	s_and_b32 s9, s12, 0x3ffffff
	s_mul_hi_u32 s69, s11, s25
	s_mul_hi_u32 s71, s22, s2
	s_mul_i32 s59, s5, s7
	s_mul_hi_u32 s55, s2, s2
	s_mul_i32 s57, s2, s2
	;; [unrolled: 2-line block ×6, first 2 shown]
	s_add_u32 s2, s70, s80
	s_mul_hi_u32 s58, s5, s7
	s_addc_u32 s69, s69, s71
	s_mul_i32 s68, s9, s26
	s_add_u32 s2, s2, s59
	s_mul_hi_u32 s63, s9, s26
	s_addc_u32 s58, s69, s58
	s_mul_i32 s62, s13, s27
	s_add_u32 s2, s2, s68
	s_mul_hi_u32 s23, s13, s27
	s_addc_u32 s59, s58, s63
	s_add_u32 s58, s2, s62
	s_addc_u32 s59, s59, s23
	s_mul_i32 s86, s11, s22
	s_and_b32 s2, s24, 0x3ffffff
	s_mul_hi_u32 s85, s11, s22
	s_and_b32 s24, s58, 0x3fffffe
	s_lshr_b64 s[58:59], s[58:59], 26
	s_mul_i32 s84, s5, s25
	s_mul_hi_u32 s23, s2, s2
	s_mul_i32 s62, s2, s2
	s_add_u32 s2, s86, s57
	s_mul_hi_u32 s83, s5, s25
	s_addc_u32 s55, s85, s55
	s_mul_i32 s52, s9, s7
	s_add_u32 s2, s2, s84
	s_mul_hi_u32 s50, s9, s7
	s_addc_u32 s55, s55, s83
	;; [unrolled: 4-line block ×3, first 2 shown]
	s_add_u32 s2, s2, s82
	s_addc_u32 s50, s50, s81
	s_add_u32 s58, s2, s58
	s_addc_u32 s59, s50, s59
	s_and_b32 s2, s58, 0x3ffffff
	s_lshr_b64 s[58:59], s[58:59], 26
	s_mul_i32 s50, s2, 0x3d10
	s_mul_hi_u32 s52, s2, 0x3d10
	s_add_u32 s68, s50, s62
	s_addc_u32 s69, s52, s23
	s_lshl_b32 s8, s8, 1
	s_lshl_b64 s[80:81], s[2:3], 10
	s_and_b32 s2, s16, 0x3ffffff
	s_and_b32 s8, s8, 0x7fffffe
	s_mul_hi_u32 s41, s11, s11
	s_mul_i32 s43, s11, s11
	s_mul_hi_u32 s30, s11, s7
	s_mul_i32 s31, s11, s7
	s_mul_i32 s90, s5, s22
	s_mul_hi_u32 s60, s11, s27
	s_mul_i32 s102, s11, s27
	s_mul_hi_u32 s53, s11, s26
	;; [unrolled: 2-line block ×6, first 2 shown]
	s_and_b32 s16, s68, 0x3fffffd
	s_lshr_b64 s[68:69], s[68:69], 26
	s_mul_i32 s88, s9, s25
	s_add_u32 s11, s90, s11
	s_mul_hi_u32 s87, s9, s25
	s_addc_u32 s2, s89, s2
	s_mul_i32 s49, s13, s7
	s_add_u32 s11, s11, s88
	s_mul_hi_u32 s48, s13, s7
	s_addc_u32 s2, s2, s87
	s_add_u32 s11, s11, s49
	s_addc_u32 s2, s2, s48
	s_add_u32 s48, s11, s58
	s_addc_u32 s49, s2, s59
	s_and_b32 s2, s48, 0x3ffffff
	s_lshr_b64 s[58:59], s[48:49], 26
	s_add_u32 s49, s80, s50
	s_addc_u32 s23, s81, s23
	s_mul_i32 s48, s2, 0x3d10
	s_add_u32 s49, s49, s68
	s_mul_hi_u32 s11, s2, 0x3d10
	s_addc_u32 s23, s23, s69
	s_add_u32 s68, s49, s48
	s_addc_u32 s69, s23, s11
	s_mul_i32 s62, s5, s8
	s_mul_hi_u32 s57, s5, s8
	s_lshl_b64 s[80:81], s[2:3], 10
	s_and_b32 s48, s68, 0x3ffffff
	s_lshr_b64 s[68:69], s[68:69], 26
	s_mul_i32 s96, s9, s22
	s_add_u32 s2, s62, s43
	s_mul_hi_u32 s95, s9, s22
	s_addc_u32 s11, s57, s41
	s_mul_i32 s94, s13, s25
	s_add_u32 s2, s2, s96
	s_mul_hi_u32 s93, s13, s25
	s_addc_u32 s11, s11, s95
	s_add_u32 s2, s2, s94
	s_addc_u32 s11, s11, s93
	s_add_u32 s58, s2, s58
	s_addc_u32 s59, s11, s59
	s_mul_i32 s92, s15, s27
	s_mul_hi_u32 s91, s15, s27
	s_and_b32 s2, s58, 0x3ffffff
	s_lshr_b64 s[58:59], s[58:59], 26
	s_add_u32 s41, s92, s55
	s_addc_u32 s43, s91, s52
	s_mul_i32 s23, s2, 0x3d10
	s_add_u32 s41, s41, s80
	s_mul_hi_u32 s11, s2, 0x3d10
	s_addc_u32 s43, s43, s81
	s_add_u32 s23, s41, s23
	s_addc_u32 s11, s43, s11
	s_add_u32 s68, s23, s68
	s_addc_u32 s69, s11, s69
	s_lshl_b64 s[80:81], s[2:3], 10
	s_and_b32 s2, s4, 0x3ffffff
	s_lshl_b32 s4, s10, 1
	s_mul_hi_u32 s17, s15, s15
	s_and_b32 s4, s4, 0x7fffffe
	s_mul_i32 s19, s15, s15
	s_mul_hi_u32 s28, s5, s5
	s_mul_i32 s29, s5, s5
	s_mul_hi_u32 s97, s26, s15
	;; [unrolled: 2-line block ×4, first 2 shown]
	s_mul_i32 s45, s5, s26
	s_mul_i32 s70, s9, s8
	s_mul_hi_u32 s23, s2, s27
	s_mul_i32 s43, s2, s27
	s_mul_hi_u32 s49, s2, s26
	s_mul_i32 s50, s2, s26
	s_mul_hi_u32 s52, s7, s2
	s_mul_i32 s55, s7, s2
	s_mul_hi_u32 s57, s2, s2
	s_mul_i32 s62, s2, s2
	s_mul_hi_u32 s2, s4, s5
	s_mul_i32 s5, s4, s5
	s_mul_hi_u32 s63, s9, s8
	s_and_b32 s41, s68, 0x3ffffff
	s_lshr_b64 s[10:11], s[68:69], 26
	s_mul_hi_u32 s99, s13, s22
	s_mul_i32 s22, s13, s22
	s_mul_hi_u32 s82, s9, s4
	s_mul_i32 s83, s9, s4
	s_mul_hi_u32 s84, s13, s4
	s_mul_i32 s85, s13, s4
	s_add_u32 s4, s70, s5
	s_addc_u32 s2, s63, s2
	s_add_u32 s4, s4, s22
	s_addc_u32 s2, s2, s99
	;; [unrolled: 2-line block ×3, first 2 shown]
	s_and_b32 s2, s4, 0x3ffffff
	s_lshr_b64 s[58:59], s[4:5], 26
	s_add_u32 s22, s43, s98
	s_addc_u32 s23, s23, s97
	s_mul_i32 s5, s2, 0x3d10
	s_add_u32 s22, s22, s80
	s_mul_hi_u32 s4, s2, 0x3d10
	s_addc_u32 s23, s23, s81
	s_add_u32 s5, s22, s5
	s_addc_u32 s22, s23, s4
	s_add_u32 s4, s5, s10
	s_addc_u32 s5, s22, s11
	s_lshl_b64 s[10:11], s[2:3], 10
	s_and_b32 s2, s6, 0x3ffffff
	s_lshr_b64 s[68:69], s[4:5], 26
	s_mul_hi_u32 s71, s13, s8
	s_mul_i32 s8, s13, s8
	s_mul_hi_u32 s5, s2, s27
	s_mul_i32 s22, s2, s27
	;; [unrolled: 2-line block ×6, first 2 shown]
	s_add_u32 s2, s83, s29
	s_addc_u32 s6, s82, s28
	s_add_u32 s2, s2, s8
	s_addc_u32 s7, s6, s71
	;; [unrolled: 2-line block ×3, first 2 shown]
	s_mul_hi_u32 s39, s9, s27
	s_mul_i32 s42, s9, s27
	s_and_b32 s2, s6, 0x3ffffff
	s_lshr_b64 s[26:27], s[6:7], 26
	s_add_u32 s8, s50, s19
	s_addc_u32 s17, s49, s17
	s_add_u32 s8, s8, s22
	s_addc_u32 s5, s17, s5
	s_mul_i32 s7, s2, 0x3d10
	s_add_u32 s8, s8, s10
	s_mul_hi_u32 s6, s2, 0x3d10
	s_addc_u32 s5, s5, s11
	s_add_u32 s7, s8, s7
	s_addc_u32 s5, s5, s6
	s_add_u32 s6, s7, s68
	s_addc_u32 s7, s5, s69
	s_lshl_b32 s5, s14, 1
	s_lshl_b64 s[10:11], s[2:3], 10
	s_and_b32 s2, s5, 0x7fffffe
	s_lshr_b64 s[28:29], s[6:7], 26
	s_mul_i32 s7, s2, s9
	s_mul_hi_u32 s5, s2, s9
	s_mul_hi_u32 s14, s13, s2
	s_mul_i32 s17, s13, s2
	s_add_u32 s2, s85, s7
	s_addc_u32 s5, s84, s5
	s_add_u32 s8, s2, s26
	s_mul_hi_u32 s34, s9, s9
	s_mul_i32 s35, s9, s9
	s_addc_u32 s9, s5, s27
	s_and_b32 s2, s8, 0x3ffffff
	s_lshr_b64 s[26:27], s[8:9], 26
	s_add_u32 s8, s43, s55
	s_addc_u32 s9, s23, s52
	s_add_u32 s8, s8, s101
	s_addc_u32 s9, s9, s100
	s_mul_i32 s7, s2, 0x3d10
	s_add_u32 s8, s8, s10
	s_mul_hi_u32 s5, s2, 0x3d10
	s_addc_u32 s9, s9, s11
	s_add_u32 s7, s8, s7
	s_addc_u32 s5, s9, s5
	s_add_u32 s8, s7, s28
	s_addc_u32 s9, s5, s29
	s_lshl_b64 s[10:11], s[2:3], 10
	s_lshr_b64 s[28:29], s[8:9], 26
	s_add_u32 s2, s17, s35
	s_addc_u32 s5, s14, s34
	s_add_u32 s26, s2, s26
	s_addc_u32 s27, s5, s27
	s_and_b32 s2, s26, 0x3ffffff
	s_lshr_b64 s[26:27], s[26:27], 26
	s_add_u32 s9, s70, s62
	s_addc_u32 s14, s63, s57
	s_add_u32 s9, s9, s104
	s_addc_u32 s14, s14, s103
	;; [unrolled: 2-line block ×3, first 2 shown]
	s_mul_i32 s7, s2, 0x3d10
	s_add_u32 s9, s9, s10
	s_mul_hi_u32 s5, s2, 0x3d10
	s_addc_u32 s10, s14, s11
	s_add_u32 s7, s9, s7
	s_addc_u32 s5, s10, s5
	s_add_u32 s10, s7, s28
	s_addc_u32 s11, s5, s29
	s_lshl_b32 s5, s12, 1
	s_lshl_b64 s[28:29], s[2:3], 10
	s_and_b32 s2, s5, 0x7fffffe
	s_lshr_b64 s[34:35], s[10:11], 26
	s_mul_i32 s5, s2, s13
	s_mul_hi_u32 s2, s2, s13
	s_add_u32 s12, s26, s5
	s_mul_hi_u32 s38, s13, s13
	s_mul_i32 s40, s13, s13
	s_addc_u32 s13, s27, s2
	s_and_b32 s2, s12, 0x3ffffff
	s_lshr_b64 s[12:13], s[12:13], 26
	s_add_u32 s9, s37, s25
	s_addc_u32 s11, s36, s80
	s_add_u32 s9, s9, s54
	s_addc_u32 s11, s11, s53
	;; [unrolled: 2-line block ×3, first 2 shown]
	s_mul_i32 s7, s2, 0x3d10
	s_add_u32 s9, s9, s28
	s_mul_hi_u32 s5, s2, 0x3d10
	s_addc_u32 s11, s11, s29
	s_add_u32 s7, s9, s7
	s_addc_u32 s5, s11, s5
	s_add_u32 s14, s7, s34
	s_addc_u32 s15, s5, s35
	s_lshl_b64 s[26:27], s[2:3], 10
	s_lshr_b64 s[28:29], s[14:15], 26
	s_add_u32 s12, s12, s40
	s_addc_u32 s13, s13, s38
	s_and_b32 s2, s12, 0x3ffffff
	s_lshr_b64 s[34:35], s[12:13], 26
	s_add_u32 s9, s47, s86
	s_addc_u32 s11, s46, s81
	v_alignbit_b32 v0, s13, s12, 26
	s_add_u32 s9, s9, s31
	s_addc_u32 s11, s11, s30
	s_add_u32 s9, s9, s45
	s_addc_u32 s11, s11, s44
	s_add_u32 s9, s9, s42
	v_readfirstlane_b32 s12, v0
	s_addc_u32 s11, s11, s39
	s_mul_i32 s7, s2, 0x3d10
	s_add_u32 s9, s9, s26
	s_mul_hi_u32 s5, s2, 0x3d10
	s_addc_u32 s11, s11, s27
	s_add_u32 s7, s9, s7
	s_addc_u32 s5, s11, s5
	s_mul_hi_u32 s15, s12, 0x3d10
	s_mul_i32 s17, s12, 0x3d10
	s_add_u32 s12, s7, s28
	s_addc_u32 s13, s5, s29
	s_lshl_b64 s[26:27], s[2:3], 10
	s_lshr_b64 s[28:29], s[12:13], 26
	s_add_u32 s2, s17, s24
	s_addc_u32 s5, s15, 0
	s_add_u32 s2, s2, s26
	s_addc_u32 s5, s5, s27
	;; [unrolled: 2-line block ×3, first 2 shown]
	s_lshl_b64 s[24:25], s[34:35], 14
	s_lshr_b64 s[28:29], s[26:27], 22
	s_delay_alu instid0(SALU_CYCLE_1)
	s_add_u32 s28, s28, s24
	s_addc_u32 s29, s29, s25
	s_mul_hi_u32 s2, s28, 0x3d1
	s_mul_i32 s5, s29, 0x3d1
	s_mul_i32 s7, s28, 0x3d1
	s_add_i32 s2, s2, s5
	s_add_u32 s24, s7, s16
	s_addc_u32 s25, s2, 0
	s_lshl_b64 s[16:17], s[28:29], 6
	s_lshr_b64 s[28:29], s[24:25], 26
	s_add_u32 s2, s16, s48
	s_addc_u32 s5, s17, 0
	s_add_u32 s16, s2, s28
	s_addc_u32 s17, s5, s29
	s_add_i32 s18, s18, -1
	s_lshr_b64 s[28:29], s[16:17], 26
	s_delay_alu instid0(SALU_CYCLE_1)
	s_add_u32 s15, s28, s41
	s_cmp_lg_u32 s18, 0
	s_cbranch_scc1 .LBB0_5
; %bb.6:
	s_and_b32 s17, s24, 0x3ffffff
	s_and_b32 s19, s4, 0x3ffffff
	;; [unrolled: 1-line block ×3, first 2 shown]
	s_mul_i32 s6, s19, s73
	s_and_b32 s25, s8, 0x3ffffff
	s_mul_i32 s8, s24, s74
	s_and_b32 s18, s16, 0x3ffffff
	s_mul_hi_u32 s11, s19, s73
	s_mul_hi_u32 s13, s24, s74
	s_and_b32 s27, s10, 0x3ffffff
	s_and_b32 s14, s14, 0x3ffffff
	v_readlane_b32 s0, v20, 19
	s_and_b32 s28, s12, 0x3ffffff
	s_and_b32 s26, s26, 0x3fffff
	s_mul_i32 s10, s25, s75
	s_add_u32 s6, s8, s6
	s_mul_hi_u32 s16, s25, s75
	s_addc_u32 s8, s13, s11
	s_mul_i32 s23, s27, s76
	s_add_u32 s6, s6, s10
	s_mul_hi_u32 s22, s27, s76
	s_addc_u32 s8, s8, s16
	;; [unrolled: 4-line block ×8, first 2 shown]
	s_add_u32 s4, s3, s4
	s_addc_u32 s5, s2, s9
	s_mul_i32 s12, s19, s72
	s_mul_i32 s22, s24, s73
	s_and_b32 s16, s4, 0x3ffffff
	s_lshr_b64 s[4:5], s[4:5], 26
	s_mul_hi_u32 s11, s19, s72
	s_mul_hi_u32 s13, s24, s73
	s_mul_i32 s29, s25, s74
	s_add_u32 s12, s22, s12
	s_mul_hi_u32 s23, s25, s74
	s_addc_u32 s11, s13, s11
	s_mul_i32 s31, s27, s75
	s_add_u32 s12, s12, s29
	s_mul_hi_u32 s30, s27, s75
	s_addc_u32 s11, s11, s23
	;; [unrolled: 4-line block ×7, first 2 shown]
	s_add_u32 s8, s8, s10
	s_addc_u32 s2, s2, s9
	s_add_u32 s4, s8, s4
	s_addc_u32 s5, s2, s5
	s_and_b32 s2, s4, 0x3ffffff
	s_mul_i32 s6, s17, s78
	s_mul_i32 s8, s2, 0x3d10
	s_mul_hi_u32 s7, s17, s78
	s_lshr_b64 s[4:5], s[4:5], 26
	s_mul_hi_u32 s9, s2, 0x3d10
	s_add_u32 s6, s8, s6
	s_mov_b32 s3, 0
	s_addc_u32 s7, s9, s7
	s_mul_i32 s30, s19, s56
	s_mul_i32 s34, s24, s72
	s_and_b32 s29, s6, 0x3ffffff
	s_lshr_b64 s[6:7], s[6:7], 26
	s_lshl_b64 s[8:9], s[2:3], 10
	s_mul_hi_u32 s23, s19, s56
	s_mul_hi_u32 s31, s24, s72
	s_mul_i32 s36, s25, s73
	s_add_u32 s30, s34, s30
	s_mul_hi_u32 s35, s25, s73
	s_addc_u32 s23, s31, s23
	s_mul_i32 s38, s27, s74
	s_add_u32 s30, s30, s36
	s_mul_hi_u32 s37, s27, s74
	s_addc_u32 s23, s23, s35
	;; [unrolled: 4-line block ×6, first 2 shown]
	s_add_u32 s22, s30, s22
	s_addc_u32 s2, s23, s2
	s_add_u32 s4, s22, s4
	s_addc_u32 s5, s2, s5
	s_mul_i32 s11, s17, s77
	s_mul_i32 s13, s18, s78
	s_mul_hi_u32 s10, s17, s77
	s_mul_hi_u32 s12, s18, s78
	s_and_b32 s2, s4, 0x3ffffff
	s_lshr_b64 s[4:5], s[4:5], 26
	s_add_u32 s11, s13, s11
	s_addc_u32 s10, s12, s10
	s_add_u32 s8, s11, s8
	s_addc_u32 s9, s10, s9
	s_mul_i32 s23, s2, 0x3d10
	s_add_u32 s6, s8, s6
	s_mul_hi_u32 s22, s2, 0x3d10
	s_addc_u32 s7, s9, s7
	s_add_u32 s6, s6, s23
	s_addc_u32 s7, s7, s22
	s_mul_i32 s31, s19, s21
	s_mul_i32 s35, s24, s56
	s_and_b32 s30, s6, 0x3ffffff
	s_lshr_b64 s[6:7], s[6:7], 26
	s_lshl_b64 s[8:9], s[2:3], 10
	s_mul_hi_u32 s2, s19, s21
	s_mul_hi_u32 s34, s24, s56
	s_mul_i32 s37, s25, s72
	s_add_u32 s31, s35, s31
	s_mul_hi_u32 s36, s25, s72
	s_addc_u32 s2, s34, s2
	s_mul_i32 s39, s27, s73
	s_add_u32 s31, s31, s37
	s_mul_hi_u32 s38, s27, s73
	s_addc_u32 s2, s2, s36
	;; [unrolled: 4-line block ×5, first 2 shown]
	s_add_u32 s31, s31, s45
	s_addc_u32 s2, s2, s44
	s_add_u32 s4, s31, s4
	s_addc_u32 s5, s2, s5
	s_mul_i32 s11, s17, s0
	s_mul_i32 s13, s18, s77
	s_mul_hi_u32 s10, s17, s0
	s_mul_hi_u32 s12, s18, s77
	s_and_b32 s2, s4, 0x3ffffff
	s_lshr_b64 s[4:5], s[4:5], 26
	s_mul_i32 s23, s15, s78
	s_add_u32 s11, s13, s11
	s_mul_hi_u32 s22, s15, s78
	s_addc_u32 s10, s12, s10
	s_add_u32 s11, s11, s23
	s_addc_u32 s10, s10, s22
	s_mul_i32 s34, s2, 0x3d10
	s_add_u32 s8, s11, s8
	s_mul_hi_u32 s31, s2, 0x3d10
	s_addc_u32 s9, s10, s9
	s_add_u32 s8, s8, s34
	s_addc_u32 s9, s9, s31
	s_add_u32 s6, s8, s6
	s_addc_u32 s7, s9, s7
	s_mul_i32 s10, s24, s21
	s_mul_i32 s38, s25, s56
	s_and_b32 s31, s6, 0x3ffffff
	s_lshr_b64 s[6:7], s[6:7], 26
	s_lshl_b64 s[8:9], s[2:3], 10
	s_mul_hi_u32 s2, s24, s21
	s_mul_hi_u32 s11, s25, s56
	s_mul_i32 s40, s27, s72
	s_add_u32 s10, s38, s10
	s_mul_hi_u32 s39, s27, s72
	s_addc_u32 s2, s11, s2
	s_mul_i32 s42, s14, s73
	s_add_u32 s10, s10, s40
	s_mul_hi_u32 s41, s14, s73
	s_addc_u32 s2, s2, s39
	;; [unrolled: 4-line block ×4, first 2 shown]
	s_add_u32 s10, s10, s46
	s_addc_u32 s2, s2, s45
	s_add_u32 s4, s10, s4
	s_addc_u32 s5, s2, s5
	s_mul_i32 s13, s17, s76
	s_mul_i32 s37, s19, s78
	s_mul_hi_u32 s12, s17, s76
	s_mul_hi_u32 s36, s19, s78
	s_and_b32 s2, s4, 0x3ffffff
	s_lshr_b64 s[10:11], s[4:5], 26
	s_mul_i32 s23, s18, s0
	s_add_u32 s13, s13, s37
	s_mul_hi_u32 s22, s18, s0
	s_addc_u32 s12, s12, s36
	s_mul_i32 s35, s15, s77
	s_add_u32 s13, s13, s23
	s_mul_hi_u32 s34, s15, s77
	s_addc_u32 s12, s12, s22
	s_add_u32 s13, s13, s35
	s_addc_u32 s12, s12, s34
	s_mul_i32 s5, s2, 0x3d10
	s_add_u32 s8, s13, s8
	s_mul_hi_u32 s4, s2, 0x3d10
	s_addc_u32 s9, s12, s9
	s_add_u32 s5, s8, s5
	s_addc_u32 s8, s9, s4
	s_add_u32 s4, s5, s6
	s_addc_u32 s5, s8, s7
	s_mul_i32 s39, s25, s21
	s_mul_i32 s41, s27, s56
	s_lshr_b64 s[6:7], s[4:5], 26
	s_lshl_b64 s[8:9], s[2:3], 10
	s_mul_hi_u32 s2, s25, s21
	s_mul_hi_u32 s40, s27, s56
	s_mul_i32 s43, s14, s72
	s_add_u32 s39, s41, s39
	s_mul_hi_u32 s42, s14, s72
	s_addc_u32 s2, s40, s2
	s_mul_i32 s45, s28, s73
	s_add_u32 s39, s39, s43
	s_mul_hi_u32 s44, s28, s73
	s_addc_u32 s2, s2, s42
	;; [unrolled: 4-line block ×3, first 2 shown]
	s_add_u32 s39, s39, s47
	s_addc_u32 s2, s2, s46
	s_add_u32 s10, s39, s10
	s_addc_u32 s11, s2, s11
	s_mul_i32 s36, s19, s77
	s_mul_i32 s38, s24, s78
	s_mul_hi_u32 s35, s19, s77
	s_mul_hi_u32 s37, s24, s78
	s_and_b32 s2, s10, 0x3ffffff
	s_lshr_b64 s[10:11], s[10:11], 26
	s_mul_i32 s12, s17, s75
	s_add_u32 s36, s38, s36
	s_mul_hi_u32 s5, s17, s75
	s_addc_u32 s35, s37, s35
	s_mul_i32 s22, s18, s76
	s_add_u32 s12, s36, s12
	s_mul_hi_u32 s13, s18, s76
	s_addc_u32 s5, s35, s5
	s_mul_i32 s34, s15, s0
	s_add_u32 s12, s12, s22
	s_mul_hi_u32 s23, s15, s0
	s_addc_u32 s5, s5, s13
	s_add_u32 s12, s12, s34
	s_addc_u32 s5, s5, s23
	s_mul_i32 s40, s2, 0x3d10
	s_add_u32 s8, s12, s8
	s_mul_hi_u32 s39, s2, 0x3d10
	s_addc_u32 s5, s5, s9
	s_add_u32 s8, s8, s40
	s_addc_u32 s5, s5, s39
	s_add_u32 s6, s8, s6
	s_addc_u32 s7, s5, s7
	s_mul_i32 s42, s27, s21
	s_mul_i32 s44, s14, s56
	s_lshr_b64 s[8:9], s[6:7], 26
	s_lshl_b64 s[12:13], s[2:3], 10
	s_mul_hi_u32 s2, s27, s21
	s_mul_hi_u32 s43, s14, s56
	s_mul_i32 s46, s28, s72
	s_add_u32 s42, s44, s42
	s_mul_hi_u32 s45, s28, s72
	s_addc_u32 s2, s43, s2
	s_mul_i32 s48, s26, s73
	s_add_u32 s42, s42, s46
	s_mul_hi_u32 s47, s26, s73
	s_addc_u32 s2, s2, s45
	s_add_u32 s42, s42, s48
	s_addc_u32 s2, s2, s47
	s_add_u32 s10, s42, s10
	s_addc_u32 s11, s2, s11
	s_mul_i32 s37, s19, s0
	s_mul_i32 s39, s24, s77
	s_mul_hi_u32 s36, s19, s0
	s_mul_hi_u32 s38, s24, s77
	s_and_b32 s2, s10, 0x3ffffff
	s_lshr_b64 s[10:11], s[10:11], 26
	s_mul_i32 s41, s25, s78
	s_add_u32 s37, s39, s37
	s_mul_hi_u32 s40, s25, s78
	s_addc_u32 s36, s38, s36
	s_mul_i32 s7, s17, s74
	s_add_u32 s37, s37, s41
	s_mul_hi_u32 s5, s17, s74
	s_addc_u32 s36, s36, s40
	s_mul_i32 s23, s18, s75
	s_add_u32 s7, s37, s7
	s_mul_hi_u32 s22, s18, s75
	s_addc_u32 s5, s36, s5
	s_mul_i32 s35, s15, s76
	s_add_u32 s7, s7, s23
	s_mul_hi_u32 s34, s15, s76
	s_addc_u32 s5, s5, s22
	s_add_u32 s7, s7, s35
	s_addc_u32 s5, s5, s34
	s_mul_i32 s43, s2, 0x3d10
	s_add_u32 s7, s7, s12
	s_mul_hi_u32 s42, s2, 0x3d10
	s_addc_u32 s5, s5, s13
	s_add_u32 s7, s7, s43
	s_addc_u32 s5, s5, s42
	s_add_u32 s8, s7, s8
	s_addc_u32 s9, s5, s9
	s_mul_i32 s36, s14, s21
	s_mul_i32 s47, s28, s56
	s_lshr_b64 s[12:13], s[8:9], 26
	s_lshl_b64 s[34:35], s[2:3], 10
	s_mul_hi_u32 s2, s14, s21
	s_mul_hi_u32 s37, s28, s56
	s_mul_i32 s49, s26, s72
	s_add_u32 s36, s47, s36
	s_mul_hi_u32 s48, s26, s72
	s_addc_u32 s2, s37, s2
	s_add_u32 s36, s36, s49
	s_addc_u32 s2, s2, s48
	s_add_u32 s10, s36, s10
	s_addc_u32 s11, s2, s11
	s_mul_i32 s40, s19, s76
	s_mul_i32 s42, s24, s0
	s_mul_hi_u32 s39, s19, s76
	s_mul_hi_u32 s41, s24, s0
	s_and_b32 s2, s10, 0x3ffffff
	s_lshr_b64 s[36:37], s[10:11], 26
	s_mul_i32 s44, s25, s77
	s_add_u32 s40, s42, s40
	s_mul_hi_u32 s43, s25, s77
	s_addc_u32 s39, s41, s39
	s_mul_i32 s46, s27, s78
	s_add_u32 s40, s40, s44
	s_mul_hi_u32 s45, s27, s78
	s_addc_u32 s39, s39, s43
	;; [unrolled: 4-line block ×5, first 2 shown]
	s_add_u32 s7, s7, s38
	s_addc_u32 s5, s5, s23
	s_mul_i32 s11, s2, 0x3d10
	s_add_u32 s7, s7, s34
	s_mul_hi_u32 s10, s2, 0x3d10
	s_addc_u32 s5, s5, s35
	s_add_u32 s7, s7, s11
	s_addc_u32 s5, s5, s10
	s_add_u32 s10, s7, s12
	s_addc_u32 s11, s5, s13
	s_mul_i32 s48, s28, s21
	s_mul_i32 s49, s26, s56
	s_lshr_b64 s[12:13], s[10:11], 26
	s_lshl_b64 s[34:35], s[2:3], 10
	s_mul_hi_u32 s2, s28, s21
	s_mul_hi_u32 s50, s26, s56
	s_add_u32 s48, s49, s48
	s_addc_u32 s2, s50, s2
	s_add_u32 s36, s48, s36
	s_addc_u32 s37, s2, s37
	s_mul_i32 s39, s19, s75
	s_mul_i32 s41, s24, s76
	s_mul_hi_u32 s38, s19, s75
	s_mul_hi_u32 s40, s24, s76
	s_and_b32 s2, s36, 0x3ffffff
	s_lshr_b64 s[36:37], s[36:37], 26
	s_mul_i32 s43, s25, s0
	s_add_u32 s39, s41, s39
	s_mul_hi_u32 s42, s25, s0
	s_addc_u32 s38, s40, s38
	s_mul_i32 s45, s27, s77
	s_add_u32 s39, s39, s43
	s_mul_hi_u32 s44, s27, s77
	s_addc_u32 s38, s38, s42
	;; [unrolled: 4-line block ×6, first 2 shown]
	s_add_u32 s7, s7, s23
	s_addc_u32 s5, s5, s22
	s_mul_i32 s49, s2, 0x3d10
	s_add_u32 s7, s7, s34
	s_mul_hi_u32 s48, s2, 0x3d10
	s_addc_u32 s5, s5, s35
	s_add_u32 s7, s7, s49
	s_addc_u32 s5, s5, s48
	s_add_u32 s12, s7, s12
	s_addc_u32 s13, s5, s13
	s_lshl_b64 s[38:39], s[2:3], 10
	s_mul_i32 s2, s26, s21
	s_lshr_b64 s[34:35], s[12:13], 26
	s_mul_hi_u32 s11, s15, s73
	s_mul_i32 s13, s15, s73
	s_mul_hi_u32 s15, s26, s21
	s_mul_hi_u32 s43, s14, s77
	s_mul_i32 s44, s14, s77
	s_add_u32 s14, s36, s2
	s_addc_u32 s15, s37, s15
	s_mul_i32 s23, s19, s74
	s_mul_hi_u32 s40, s24, s75
	s_mul_i32 s24, s24, s75
	s_mul_hi_u32 s7, s18, s72
	s_mul_i32 s9, s18, s72
	s_mul_hi_u32 s22, s19, s74
	s_and_b32 s2, s14, 0x3ffffff
	s_lshr_b64 s[18:19], s[14:15], 26
	s_mul_hi_u32 s41, s25, s76
	s_mul_i32 s25, s25, s76
	s_add_u32 s23, s24, s23
	s_addc_u32 s22, s40, s22
	s_mul_hi_u32 s42, s27, s0
	s_mul_i32 s27, s27, s0
	s_add_u32 s23, s23, s25
	s_addc_u32 s22, s22, s41
	s_add_u32 s23, s23, s27
	s_addc_u32 s22, s22, s42
	s_mul_hi_u32 s45, s28, s78
	s_mul_i32 s28, s28, s78
	s_add_u32 s23, s23, s44
	s_addc_u32 s22, s22, s43
	s_mul_hi_u32 s5, s17, s56
	s_mul_i32 s17, s17, s56
	s_add_u32 s23, s23, s28
	s_addc_u32 s22, s22, s45
	s_add_u32 s17, s23, s17
	s_addc_u32 s5, s22, s5
	;; [unrolled: 2-line block ×4, first 2 shown]
	v_alignbit_b32 v0, s15, s14, 26
	s_mul_i32 s36, s2, 0x3d10
	s_add_u32 s7, s7, s38
	s_mul_hi_u32 s26, s2, 0x3d10
	s_addc_u32 s5, s5, s39
	s_add_u32 s7, s7, s36
	s_addc_u32 s5, s5, s26
	s_add_u32 s14, s7, s34
	v_readfirstlane_b32 s7, v0
	s_addc_u32 s15, s5, s35
	s_lshl_b64 s[26:27], s[2:3], 10
	s_lshr_b64 s[24:25], s[14:15], 26
	v_readlane_b32 s1, v20, 20
	s_mul_i32 s2, s7, 0x3d10
	s_mul_hi_u32 s5, s7, 0x3d10
	s_add_u32 s2, s2, s16
	s_addc_u32 s5, s5, 0
	s_add_u32 s2, s2, s26
	s_addc_u32 s5, s5, s27
	;; [unrolled: 2-line block ×3, first 2 shown]
	s_lshl_b64 s[18:19], s[18:19], 14
	s_lshr_b64 s[16:17], s[26:27], 22
	v_writelane_b32 v20, s56, 21
	s_add_u32 s16, s16, s18
	s_addc_u32 s17, s17, s19
	s_mul_hi_u32 s5, s16, 0x3d1
	s_mul_i32 s2, s17, 0x3d1
	s_mul_i32 s7, s16, 0x3d1
	s_add_i32 s5, s5, s2
	s_add_u32 s24, s7, s29
	s_addc_u32 s25, s5, 0
	s_lshl_b64 s[16:17], s[16:17], 6
	s_lshr_b64 s[18:19], s[24:25], 26
	s_add_u32 s2, s16, s30
	s_addc_u32 s5, s17, 0
	s_add_u32 s16, s2, s18
	s_addc_u32 s17, s5, s19
	v_writelane_b32 v20, s21, 22
	s_lshr_b64 s[18:19], s[16:17], 26
	s_delay_alu instid0(SALU_CYCLE_1)
	s_add_u32 s7, s18, s31
	s_mov_b32 s18, -1
.LBB0_7:                                ; =>This Inner Loop Header: Depth=1
	s_lshl_b32 s22, s24, 1
	s_lshl_b32 s25, s4, 1
	;; [unrolled: 1-line block ×4, first 2 shown]
	s_and_b32 s15, s10, 0x3ffffff
	s_and_b32 s2, s8, 0x3ffffff
	;; [unrolled: 1-line block ×6, first 2 shown]
	s_lshl_b32 s11, s7, 1
	s_and_b32 s5, s12, 0x3ffffff
	s_and_b32 s26, s23, 0x7fffffe
	s_mul_i32 s71, s15, s25
	s_mul_i32 s81, s22, s2
	s_and_b32 s9, s14, 0x3ffffff
	s_mul_hi_u32 s70, s15, s25
	s_mul_hi_u32 s80, s22, s2
	s_mul_i32 s60, s5, s11
	s_mul_hi_u32 s57, s2, s2
	s_mul_i32 s58, s2, s2
	;; [unrolled: 2-line block ×6, first 2 shown]
	s_add_u32 s2, s71, s81
	s_mul_hi_u32 s59, s5, s11
	s_addc_u32 s70, s70, s80
	s_mul_i32 s69, s9, s26
	s_add_u32 s2, s2, s60
	s_mul_hi_u32 s68, s9, s26
	s_addc_u32 s59, s70, s59
	s_mul_i32 s62, s13, s27
	s_add_u32 s2, s2, s69
	s_mul_hi_u32 s23, s13, s27
	s_addc_u32 s59, s59, s68
	s_add_u32 s68, s2, s62
	s_addc_u32 s69, s59, s23
	s_mul_i32 s87, s15, s22
	s_and_b32 s2, s24, 0x3ffffff
	s_mul_hi_u32 s86, s15, s22
	s_and_b32 s24, s68, 0x3fffffe
	s_lshr_b64 s[68:69], s[68:69], 26
	s_mul_i32 s85, s5, s25
	s_mul_hi_u32 s23, s2, s2
	s_mul_i32 s60, s2, s2
	s_add_u32 s2, s87, s58
	s_mul_hi_u32 s84, s5, s25
	s_addc_u32 s57, s86, s57
	s_mul_i32 s53, s9, s11
	s_add_u32 s2, s2, s85
	s_mul_hi_u32 s51, s9, s11
	s_addc_u32 s57, s57, s84
	;; [unrolled: 4-line block ×3, first 2 shown]
	s_add_u32 s2, s2, s83
	s_addc_u32 s51, s51, s82
	s_add_u32 s58, s2, s68
	s_addc_u32 s59, s51, s69
	s_and_b32 s2, s58, 0x3ffffff
	s_lshr_b64 s[58:59], s[58:59], 26
	s_mul_i32 s51, s2, 0x3d10
	s_mul_hi_u32 s53, s2, 0x3d10
	s_add_u32 s68, s51, s60
	s_addc_u32 s69, s53, s23
	s_lshl_b32 s8, s8, 1
	s_lshl_b64 s[80:81], s[2:3], 10
	s_and_b32 s2, s16, 0x3ffffff
	s_and_b32 s8, s8, 0x7fffffe
	s_mul_hi_u32 s41, s15, s15
	s_mul_i32 s43, s15, s15
	s_mul_hi_u32 s30, s15, s11
	s_mul_i32 s31, s15, s11
	s_mul_i32 s91, s5, s22
	s_mul_hi_u32 s63, s15, s27
	s_mul_i32 s102, s15, s27
	s_mul_hi_u32 s54, s15, s26
	;; [unrolled: 2-line block ×6, first 2 shown]
	s_and_b32 s16, s68, 0x3fffffd
	s_lshr_b64 s[68:69], s[68:69], 26
	s_mul_i32 s89, s9, s25
	s_add_u32 s15, s91, s15
	s_mul_hi_u32 s88, s9, s25
	s_addc_u32 s2, s90, s2
	s_mul_i32 s49, s13, s11
	s_add_u32 s15, s15, s89
	s_mul_hi_u32 s48, s13, s11
	s_addc_u32 s2, s2, s88
	s_add_u32 s15, s15, s49
	s_addc_u32 s2, s2, s48
	s_add_u32 s48, s15, s58
	s_addc_u32 s49, s2, s59
	s_and_b32 s2, s48, 0x3ffffff
	s_lshr_b64 s[58:59], s[48:49], 26
	s_add_u32 s49, s80, s51
	s_addc_u32 s23, s81, s23
	s_mul_i32 s48, s2, 0x3d10
	s_add_u32 s49, s49, s68
	s_mul_hi_u32 s15, s2, 0x3d10
	s_addc_u32 s23, s23, s69
	s_add_u32 s68, s49, s48
	s_addc_u32 s69, s23, s15
	s_mul_i32 s62, s5, s8
	s_mul_hi_u32 s60, s5, s8
	s_lshl_b64 s[80:81], s[2:3], 10
	s_and_b32 s48, s68, 0x3ffffff
	s_lshr_b64 s[68:69], s[68:69], 26
	s_mul_i32 s97, s9, s22
	s_add_u32 s2, s62, s43
	s_mul_hi_u32 s96, s9, s22
	s_addc_u32 s15, s60, s41
	s_mul_i32 s95, s13, s25
	s_add_u32 s2, s2, s97
	s_mul_hi_u32 s94, s13, s25
	s_addc_u32 s15, s15, s96
	s_add_u32 s2, s2, s95
	s_addc_u32 s15, s15, s94
	s_add_u32 s58, s2, s58
	s_addc_u32 s59, s15, s59
	s_mul_i32 s93, s7, s27
	s_mul_hi_u32 s92, s7, s27
	s_and_b32 s2, s58, 0x3ffffff
	s_lshr_b64 s[58:59], s[58:59], 26
	s_add_u32 s41, s93, s57
	s_addc_u32 s43, s92, s53
	s_mul_i32 s23, s2, 0x3d10
	s_add_u32 s41, s41, s80
	s_mul_hi_u32 s15, s2, 0x3d10
	s_addc_u32 s43, s43, s81
	s_add_u32 s23, s41, s23
	s_addc_u32 s15, s43, s15
	s_add_u32 s68, s23, s68
	s_addc_u32 s69, s15, s69
	s_lshl_b64 s[80:81], s[2:3], 10
	s_and_b32 s2, s4, 0x3ffffff
	s_lshl_b32 s4, s10, 1
	s_mul_hi_u32 s28, s5, s5
	s_and_b32 s4, s4, 0x7fffffe
	s_mul_i32 s29, s5, s5
	s_mul_hi_u32 s50, s5, s27
	s_mul_i32 s52, s5, s27
	s_mul_hi_u32 s44, s5, s26
	s_mul_i32 s45, s5, s26
	s_mul_i32 s71, s9, s8
	s_mul_hi_u32 s10, s2, s27
	s_mul_i32 s15, s2, s27
	s_mul_hi_u32 s23, s2, s26
	;; [unrolled: 2-line block ×6, first 2 shown]
	s_and_b32 s41, s68, 0x3ffffff
	s_lshr_b64 s[68:69], s[68:69], 26
	s_mul_hi_u32 s99, s13, s22
	s_mul_i32 s22, s13, s22
	s_mul_hi_u32 s60, s9, s4
	s_mul_i32 s62, s9, s4
	;; [unrolled: 2-line block ×3, first 2 shown]
	s_add_u32 s4, s71, s5
	s_addc_u32 s2, s70, s2
	s_add_u32 s4, s4, s22
	s_addc_u32 s2, s2, s99
	;; [unrolled: 2-line block ×3, first 2 shown]
	s_mul_hi_u32 s17, s7, s7
	s_mul_i32 s19, s7, s7
	s_mul_hi_u32 s98, s26, s7
	s_mul_i32 s7, s26, s7
	s_and_b32 s2, s4, 0x3ffffff
	s_lshr_b64 s[58:59], s[4:5], 26
	s_add_u32 s7, s15, s7
	s_addc_u32 s10, s10, s98
	s_mul_i32 s5, s2, 0x3d10
	s_add_u32 s7, s7, s80
	s_mul_hi_u32 s4, s2, 0x3d10
	s_addc_u32 s10, s10, s81
	s_add_u32 s5, s7, s5
	s_addc_u32 s7, s10, s4
	s_add_u32 s4, s5, s68
	s_addc_u32 s5, s7, s69
	s_lshl_b64 s[68:69], s[2:3], 10
	s_and_b32 s2, s6, 0x3ffffff
	s_lshr_b64 s[6:7], s[4:5], 26
	s_mul_hi_u32 s82, s13, s8
	s_mul_i32 s8, s13, s8
	s_mul_hi_u32 s5, s2, s27
	s_mul_i32 s15, s2, s27
	;; [unrolled: 2-line block ×6, first 2 shown]
	s_add_u32 s2, s62, s29
	s_addc_u32 s10, s60, s28
	s_add_u32 s2, s2, s8
	s_addc_u32 s8, s10, s82
	;; [unrolled: 2-line block ×3, first 2 shown]
	s_and_b32 s2, s10, 0x3ffffff
	s_lshr_b64 s[10:11], s[10:11], 26
	s_add_u32 s19, s43, s19
	s_addc_u32 s17, s23, s17
	s_add_u32 s15, s19, s15
	s_addc_u32 s5, s17, s5
	s_mul_i32 s26, s2, 0x3d10
	s_add_u32 s15, s15, s68
	s_mul_hi_u32 s8, s2, 0x3d10
	s_addc_u32 s5, s5, s69
	s_add_u32 s15, s15, s26
	s_addc_u32 s5, s5, s8
	s_add_u32 s6, s15, s6
	s_addc_u32 s7, s5, s7
	s_lshl_b32 s5, s12, 1
	s_mul_hi_u32 s39, s9, s27
	s_mul_i32 s42, s9, s27
	s_lshl_b64 s[26:27], s[2:3], 10
	s_and_b32 s2, s5, 0x7fffffe
	s_lshr_b64 s[28:29], s[6:7], 26
	s_mul_i32 s7, s2, s9
	s_mul_hi_u32 s5, s2, s9
	s_mul_hi_u32 s12, s13, s2
	s_mul_i32 s15, s13, s2
	s_add_u32 s2, s84, s7
	s_addc_u32 s5, s83, s5
	s_add_u32 s8, s2, s10
	s_mul_hi_u32 s34, s9, s9
	s_mul_i32 s35, s9, s9
	s_addc_u32 s9, s5, s11
	s_and_b32 s2, s8, 0x3ffffff
	s_lshr_b64 s[10:11], s[8:9], 26
	s_add_u32 s8, s70, s51
	s_addc_u32 s9, s22, s49
	s_add_u32 s8, s8, s101
	s_addc_u32 s9, s9, s100
	s_mul_i32 s7, s2, 0x3d10
	s_add_u32 s8, s8, s26
	s_mul_hi_u32 s5, s2, 0x3d10
	s_addc_u32 s9, s9, s27
	s_add_u32 s7, s8, s7
	s_addc_u32 s5, s9, s5
	s_add_u32 s8, s7, s28
	s_addc_u32 s9, s5, s29
	s_lshl_b64 s[26:27], s[2:3], 10
	s_lshr_b64 s[28:29], s[8:9], 26
	s_add_u32 s2, s15, s35
	s_addc_u32 s5, s12, s34
	s_add_u32 s10, s2, s10
	s_addc_u32 s11, s5, s11
	s_and_b32 s2, s10, 0x3ffffff
	s_lshr_b64 s[34:35], s[10:11], 26
	s_add_u32 s9, s80, s57
	s_addc_u32 s10, s71, s53
	s_add_u32 s9, s9, s104
	s_addc_u32 s10, s10, s103
	;; [unrolled: 2-line block ×3, first 2 shown]
	s_mul_i32 s7, s2, 0x3d10
	s_add_u32 s9, s9, s26
	s_mul_hi_u32 s5, s2, 0x3d10
	s_addc_u32 s10, s10, s27
	s_add_u32 s7, s9, s7
	s_addc_u32 s5, s10, s5
	s_add_u32 s10, s7, s28
	s_addc_u32 s11, s5, s29
	s_lshl_b32 s5, s14, 1
	s_lshl_b64 s[14:15], s[2:3], 10
	s_and_b32 s2, s5, 0x7fffffe
	s_lshr_b64 s[26:27], s[10:11], 26
	s_mul_i32 s5, s2, s13
	s_mul_hi_u32 s2, s2, s13
	s_add_u32 s12, s34, s5
	s_mul_hi_u32 s38, s13, s13
	s_mul_i32 s40, s13, s13
	s_addc_u32 s13, s35, s2
	s_and_b32 s2, s12, 0x3ffffff
	s_lshr_b64 s[28:29], s[12:13], 26
	s_add_u32 s9, s37, s25
	s_addc_u32 s11, s36, s81
	s_add_u32 s9, s9, s55
	s_addc_u32 s11, s11, s54
	;; [unrolled: 2-line block ×3, first 2 shown]
	s_mul_i32 s7, s2, 0x3d10
	s_add_u32 s9, s9, s14
	s_mul_hi_u32 s5, s2, 0x3d10
	s_addc_u32 s11, s11, s15
	s_add_u32 s7, s9, s7
	s_addc_u32 s5, s11, s5
	s_add_u32 s12, s7, s26
	s_addc_u32 s13, s5, s27
	s_lshl_b64 s[14:15], s[2:3], 10
	s_lshr_b64 s[26:27], s[12:13], 26
	s_add_u32 s28, s28, s40
	s_addc_u32 s29, s29, s38
	s_and_b32 s2, s28, 0x3ffffff
	s_lshr_b64 s[34:35], s[28:29], 26
	s_add_u32 s9, s47, s86
	s_addc_u32 s11, s46, s85
	s_add_u32 s9, s9, s31
	s_addc_u32 s11, s11, s30
	v_alignbit_b32 v0, s29, s28, 26
	s_add_u32 s9, s9, s45
	s_addc_u32 s11, s11, s44
	s_add_u32 s9, s9, s42
	s_addc_u32 s11, s11, s39
	s_mul_i32 s7, s2, 0x3d10
	s_add_u32 s9, s9, s14
	s_mul_hi_u32 s5, s2, 0x3d10
	v_readfirstlane_b32 s13, v0
	s_addc_u32 s11, s11, s15
	s_add_u32 s7, s9, s7
	s_addc_u32 s5, s11, s5
	s_add_u32 s14, s7, s26
	s_addc_u32 s15, s5, s27
	s_mul_hi_u32 s17, s13, 0x3d10
	s_mulk_i32 s13, 0x3d10
	s_lshl_b64 s[26:27], s[2:3], 10
	s_lshr_b64 s[28:29], s[14:15], 26
	s_add_u32 s2, s13, s24
	s_addc_u32 s5, s17, 0
	s_add_u32 s2, s2, s26
	s_addc_u32 s5, s5, s27
	;; [unrolled: 2-line block ×3, first 2 shown]
	s_lshl_b64 s[24:25], s[34:35], 14
	s_lshr_b64 s[28:29], s[26:27], 22
	s_delay_alu instid0(SALU_CYCLE_1)
	s_add_u32 s28, s28, s24
	s_addc_u32 s29, s29, s25
	s_mul_hi_u32 s2, s28, 0x3d1
	s_mul_i32 s7, s29, 0x3d1
	s_mul_i32 s5, s28, 0x3d1
	s_add_i32 s2, s2, s7
	s_add_u32 s24, s5, s16
	s_addc_u32 s25, s2, 0
	s_lshl_b64 s[16:17], s[28:29], 6
	s_lshr_b64 s[28:29], s[24:25], 26
	s_add_u32 s2, s16, s48
	s_addc_u32 s5, s17, 0
	s_add_u32 s16, s2, s28
	s_addc_u32 s17, s5, s29
	s_and_b32 vcc_lo, exec_lo, s18
	s_lshr_b64 s[28:29], s[16:17], 26
	s_mov_b32 s18, 0
	s_add_u32 s7, s28, s41
	s_cbranch_vccnz .LBB0_7
; %bb.8:
	v_writelane_b32 v20, s72, 23
	s_and_b32 s28, s12, 0x3ffffff
	s_and_b32 s19, s4, 0x3ffffff
	;; [unrolled: 1-line block ×3, first 2 shown]
	s_mul_i32 s12, s28, s66
	v_readlane_b32 s0, v20, 7
	v_readlane_b32 s1, v20, 8
	;; [unrolled: 1-line block ×4, first 2 shown]
	s_mul_hi_u32 s23, s28, s65
	s_and_b32 s15, s24, 0x3ffffff
	s_mul_i32 s6, s19, s0
	s_and_b32 s24, s8, 0x3ffffff
	s_mul_i32 s8, s25, s1
	s_and_b32 s18, s16, 0x3ffffff
	s_mul_hi_u32 s13, s19, s0
	s_mul_hi_u32 s16, s25, s1
	s_and_b32 s27, s10, 0x3ffffff
	s_add_i32 s23, s23, s12
	s_and_b32 s14, s14, 0x3ffffff
	s_and_b32 s26, s26, 0x3fffff
	s_mul_i32 s22, s24, s58
	s_add_u32 s6, s8, s6
	s_mul_hi_u32 s17, s24, s58
	v_readlane_b32 s55, v20, 5
	s_addc_u32 s8, s16, s13
	s_mul_i32 s29, s27, s57
	s_add_u32 s6, s6, s22
	s_mul_hi_u32 s10, s27, s57
	v_readlane_b32 s21, v20, 4
	s_addc_u32 s8, s8, s17
	s_mul_i32 s12, s28, s65
	s_add_u32 s6, s6, s29
	s_addc_u32 s8, s8, s10
	s_mul_i32 s31, s14, s55
	s_add_u32 s6, s6, s12
	s_mul_hi_u32 s30, s14, s55
	s_addc_u32 s8, s8, s23
	s_mul_i32 s35, s26, s21
	s_add_u32 s6, s6, s31
	s_mul_hi_u32 s34, s26, s21
	;; [unrolled: 4-line block ×4, first 2 shown]
	s_addc_u32 s2, s8, s2
	s_mul_i32 s4, s7, vcc_hi
	s_add_u32 s3, s3, s9
	s_mul_hi_u32 s11, s7, vcc_hi
	s_addc_u32 s2, s2, s5
	s_add_u32 s4, s3, s4
	s_addc_u32 s5, s2, s11
	s_mul_i32 s35, s14, s66
	s_mul_hi_u32 s36, s14, s65
	s_mul_i32 s16, s19, vcc_hi
	s_mul_i32 s22, s25, s0
	s_and_b32 s6, s4, 0x3ffffff
	s_lshr_b64 s[4:5], s[4:5], 26
	s_mul_hi_u32 s13, s19, vcc_hi
	s_mul_hi_u32 s17, s25, s0
	s_add_i32 s36, s36, s35
	s_mul_i32 s29, s24, s1
	s_add_u32 s16, s22, s16
	s_mul_hi_u32 s23, s24, s1
	s_addc_u32 s13, s17, s13
	s_mul_i32 s31, s27, s58
	s_add_u32 s16, s16, s29
	s_mul_hi_u32 s30, s27, s58
	s_addc_u32 s13, s13, s23
	;; [unrolled: 4-line block ×3, first 2 shown]
	s_mul_i32 s35, s14, s65
	s_add_u32 s16, s16, s37
	s_addc_u32 s13, s13, s34
	s_mul_i32 s39, s26, s55
	s_add_u32 s16, s16, s35
	s_mul_hi_u32 s38, s26, s55
	s_addc_u32 s13, s13, s36
	s_mul_i32 s10, s18, s64
	s_add_u32 s16, s16, s39
	s_mul_hi_u32 s2, s18, s64
	;; [unrolled: 4-line block ×3, first 2 shown]
	s_addc_u32 s2, s13, s2
	s_add_u32 s10, s10, s12
	s_addc_u32 s2, s2, s11
	s_add_u32 s4, s10, s4
	s_addc_u32 s5, s2, s5
	s_and_b32 s2, s4, 0x3ffffff
	s_mul_i32 s8, s15, s21
	s_mul_i32 s10, s2, 0x3d10
	s_mul_hi_u32 s9, s15, s21
	s_lshr_b64 s[4:5], s[4:5], 26
	s_mul_hi_u32 s11, s2, 0x3d10
	s_add_u32 s8, s10, s8
	s_mov_b32 s3, 0
	s_addc_u32 s9, s11, s9
	s_mul_i32 s42, s26, s66
	s_mul_hi_u32 s43, s26, s65
	s_mul_i32 s30, s19, s67
	s_mul_i32 s34, s25, vcc_hi
	s_and_b32 s29, s8, 0x3ffffff
	s_lshr_b64 s[8:9], s[8:9], 26
	s_lshl_b64 s[10:11], s[2:3], 10
	s_mul_hi_u32 s23, s19, s67
	s_mul_hi_u32 s31, s25, vcc_hi
	s_add_i32 s43, s43, s42
	s_mul_i32 s36, s24, s0
	s_add_u32 s30, s34, s30
	s_mul_hi_u32 s35, s24, s0
	s_addc_u32 s23, s31, s23
	s_mul_i32 s38, s27, s1
	s_add_u32 s30, s30, s36
	s_mul_hi_u32 s37, s27, s1
	s_addc_u32 s23, s23, s35
	;; [unrolled: 4-line block ×4, first 2 shown]
	s_mul_i32 s42, s26, s65
	s_add_u32 s30, s30, s44
	s_addc_u32 s23, s23, s41
	s_mul_i32 s22, s7, s64
	s_add_u32 s30, s30, s42
	s_mul_hi_u32 s2, s7, s64
	s_addc_u32 s23, s23, s43
	s_add_u32 s22, s30, s22
	s_addc_u32 s2, s23, s2
	s_add_u32 s4, s22, s4
	s_addc_u32 s5, s2, s5
	s_mul_i32 s13, s15, s55
	s_mul_i32 s17, s18, s21
	s_mul_hi_u32 s12, s15, s55
	s_mul_hi_u32 s16, s18, s21
	s_and_b32 s2, s4, 0x3ffffff
	s_lshr_b64 s[4:5], s[4:5], 26
	s_add_u32 s13, s17, s13
	s_addc_u32 s12, s16, s12
	s_add_u32 s10, s13, s10
	s_addc_u32 s11, s12, s11
	s_mul_i32 s23, s2, 0x3d10
	s_add_u32 s8, s10, s8
	s_mul_hi_u32 s22, s2, 0x3d10
	s_addc_u32 s9, s11, s9
	s_add_u32 s8, s8, s23
	s_addc_u32 s9, s9, s22
	s_mul_i32 s12, s15, s66
	s_mul_hi_u32 s13, s15, s65
	s_mul_i32 s30, s19, s64
	s_mul_i32 s35, s25, s67
	s_and_b32 s34, s8, 0x3ffffff
	s_lshr_b64 s[8:9], s[8:9], 26
	s_lshl_b64 s[10:11], s[2:3], 10
	s_add_i32 s13, s13, s12
	s_mul_hi_u32 s2, s19, s64
	s_mul_hi_u32 s31, s25, s67
	s_mul_i32 s37, s24, vcc_hi
	s_add_u32 s30, s35, s30
	s_mul_hi_u32 s36, s24, vcc_hi
	s_addc_u32 s2, s31, s2
	s_mul_i32 s39, s27, s0
	s_add_u32 s30, s30, s37
	s_mul_hi_u32 s38, s27, s0
	s_addc_u32 s2, s2, s36
	s_mul_i32 s41, s28, s1
	s_add_u32 s30, s30, s39
	s_mul_hi_u32 s40, s28, s1
	;; [unrolled: 4-line block ×4, first 2 shown]
	s_addc_u32 s2, s2, s42
	s_add_u32 s30, s30, s45
	s_addc_u32 s2, s2, s44
	s_add_u32 s4, s30, s4
	s_addc_u32 s5, s2, s5
	s_mul_i32 s12, s15, s65
	s_mul_i32 s17, s18, s55
	s_mul_hi_u32 s16, s18, s55
	s_and_b32 s2, s4, 0x3ffffff
	s_lshr_b64 s[4:5], s[4:5], 26
	s_mul_i32 s23, s7, s21
	s_add_u32 s12, s17, s12
	s_mul_hi_u32 s22, s7, s21
	s_addc_u32 s13, s16, s13
	s_add_u32 s12, s12, s23
	s_addc_u32 s13, s13, s22
	s_mul_i32 s31, s2, 0x3d10
	s_add_u32 s10, s12, s10
	s_mul_hi_u32 s30, s2, 0x3d10
	s_addc_u32 s11, s13, s11
	s_add_u32 s10, s10, s31
	s_addc_u32 s11, s11, s30
	s_add_u32 s8, s10, s8
	s_addc_u32 s9, s11, s9
	s_lshl_b64 s[10:11], s[2:3], 10
	s_mul_i32 s2, s18, s66
	s_mul_hi_u32 s12, s18, s65
	s_mul_i32 s38, s24, s67
	s_add_i32 s22, s12, s2
	s_mul_i32 s12, s25, s64
	s_and_b32 s35, s8, 0x3ffffff
	s_lshr_b64 s[8:9], s[8:9], 26
	s_mul_hi_u32 s2, s25, s64
	s_mul_hi_u32 s13, s24, s67
	s_mul_i32 s40, s27, vcc_hi
	s_add_u32 s12, s38, s12
	s_mul_hi_u32 s39, s27, vcc_hi
	s_addc_u32 s2, s13, s2
	s_mul_i32 s42, s28, s0
	s_add_u32 s12, s12, s40
	s_mul_hi_u32 s41, s28, s0
	s_addc_u32 s2, s2, s39
	s_mul_i32 s44, s14, s1
	s_add_u32 s12, s12, s42
	s_mul_hi_u32 s43, s14, s1
	;; [unrolled: 4-line block ×3, first 2 shown]
	s_addc_u32 s2, s2, s43
	s_add_u32 s12, s12, s46
	s_addc_u32 s2, s2, s45
	s_add_u32 s4, s12, s4
	s_addc_u32 s5, s2, s5
	s_mul_i32 s17, s15, s57
	s_mul_i32 s37, s19, s21
	s_mul_hi_u32 s16, s15, s57
	s_mul_hi_u32 s36, s19, s21
	s_and_b32 s2, s4, 0x3ffffff
	s_lshr_b64 s[12:13], s[4:5], 26
	s_mul_i32 s23, s18, s65
	s_add_u32 s17, s17, s37
	s_addc_u32 s16, s16, s36
	s_mul_i32 s31, s7, s55
	s_add_u32 s17, s17, s23
	s_mul_hi_u32 s30, s7, s55
	s_addc_u32 s16, s16, s22
	s_add_u32 s17, s17, s31
	s_addc_u32 s16, s16, s30
	s_mul_i32 s5, s2, 0x3d10
	s_add_u32 s10, s17, s10
	s_mul_hi_u32 s4, s2, 0x3d10
	s_addc_u32 s11, s16, s11
	s_add_u32 s5, s10, s5
	s_addc_u32 s10, s11, s4
	s_add_u32 s4, s5, s8
	s_addc_u32 s5, s10, s9
	s_lshl_b64 s[10:11], s[2:3], 10
	s_mul_i32 s2, s7, s66
	s_mul_hi_u32 s23, s7, s65
	s_mul_i32 s40, s24, s64
	s_mul_i32 s42, s27, s67
	s_lshr_b64 s[8:9], s[4:5], 26
	s_add_i32 s23, s23, s2
	s_mul_hi_u32 s2, s24, s64
	s_mul_hi_u32 s41, s27, s67
	s_mul_i32 s44, s28, vcc_hi
	s_add_u32 s40, s42, s40
	s_mul_hi_u32 s43, s28, vcc_hi
	s_addc_u32 s2, s41, s2
	s_mul_i32 s46, s14, s0
	s_add_u32 s40, s40, s44
	s_mul_hi_u32 s45, s14, s0
	s_addc_u32 s2, s2, s43
	s_mul_i32 s48, s26, s1
	s_add_u32 s40, s40, s46
	s_mul_hi_u32 s47, s26, s1
	s_addc_u32 s2, s2, s45
	s_add_u32 s40, s40, s48
	s_addc_u32 s2, s2, s47
	s_add_u32 s12, s40, s12
	s_addc_u32 s13, s2, s13
	s_mul_i32 s37, s19, s55
	s_mul_i32 s39, s25, s21
	s_mul_hi_u32 s36, s19, s55
	s_mul_hi_u32 s38, s25, s21
	s_and_b32 s2, s12, 0x3ffffff
	s_lshr_b64 s[12:13], s[12:13], 26
	s_mul_i32 s17, s15, s58
	s_add_u32 s37, s39, s37
	s_mul_hi_u32 s16, s15, s58
	s_addc_u32 s36, s38, s36
	s_mul_i32 s30, s18, s57
	s_add_u32 s17, s37, s17
	s_mul_hi_u32 s22, s18, s57
	s_addc_u32 s16, s36, s16
	s_mul_i32 s31, s7, s65
	s_add_u32 s17, s17, s30
	s_addc_u32 s16, s16, s22
	s_add_u32 s17, s17, s31
	s_addc_u32 s16, s16, s23
	s_mul_i32 s41, s2, 0x3d10
	s_add_u32 s10, s17, s10
	s_mul_hi_u32 s40, s2, 0x3d10
	s_addc_u32 s11, s16, s11
	s_add_u32 s10, s10, s41
	s_addc_u32 s11, s11, s40
	s_add_u32 s8, s10, s8
	s_addc_u32 s9, s11, s9
	s_lshl_b64 s[16:17], s[2:3], 10
	s_mul_i32 s2, s19, s66
	s_mul_hi_u32 s37, s19, s65
	s_mul_i32 s44, s27, s64
	s_mul_i32 s46, s28, s67
	s_lshr_b64 s[10:11], s[8:9], 26
	s_add_i32 s37, s37, s2
	s_mul_hi_u32 s2, s27, s64
	s_mul_hi_u32 s45, s28, s67
	s_mul_i32 s48, s14, vcc_hi
	s_add_u32 s44, s46, s44
	s_mul_hi_u32 s47, s14, vcc_hi
	s_addc_u32 s2, s45, s2
	s_mul_i32 s50, s26, s0
	s_add_u32 s44, s44, s48
	s_mul_hi_u32 s49, s26, s0
	s_addc_u32 s2, s2, s47
	s_add_u32 s44, s44, s50
	s_addc_u32 s2, s2, s49
	s_add_u32 s12, s44, s12
	s_addc_u32 s13, s2, s13
	s_mul_i32 s39, s19, s65
	s_mul_i32 s41, s25, s55
	s_mul_hi_u32 s40, s25, s55
	s_and_b32 s2, s12, 0x3ffffff
	s_lshr_b64 s[12:13], s[12:13], 26
	s_mul_i32 s43, s24, s21
	s_add_u32 s39, s41, s39
	s_mul_hi_u32 s42, s24, s21
	s_addc_u32 s37, s40, s37
	s_mul_i32 s23, s15, s1
	s_add_u32 s39, s39, s43
	s_mul_hi_u32 s22, s15, s1
	s_addc_u32 s37, s37, s42
	;; [unrolled: 4-line block ×4, first 2 shown]
	s_add_u32 s23, s23, s38
	s_addc_u32 s22, s22, s36
	s_mul_i32 s45, s2, 0x3d10
	s_add_u32 s16, s23, s16
	s_mul_hi_u32 s44, s2, 0x3d10
	s_addc_u32 s17, s22, s17
	s_add_u32 s16, s16, s45
	s_addc_u32 s17, s17, s44
	s_add_u32 s10, s16, s10
	s_addc_u32 s11, s17, s11
	s_lshl_b64 s[30:31], s[2:3], 10
	s_mul_i32 s2, s25, s66
	s_mul_hi_u32 s36, s25, s65
	s_mul_i32 s50, s14, s67
	s_add_i32 s44, s36, s2
	s_mul_i32 s36, s28, s64
	s_lshr_b64 s[16:17], s[10:11], 26
	s_mul_hi_u32 s2, s28, s64
	s_mul_hi_u32 s37, s14, s67
	s_mul_i32 s52, s26, vcc_hi
	s_add_u32 s36, s50, s36
	s_mul_hi_u32 s51, s26, vcc_hi
	s_addc_u32 s2, s37, s2
	s_add_u32 s36, s36, s52
	s_addc_u32 s2, s2, s51
	s_add_u32 s12, s36, s12
	s_addc_u32 s13, s2, s13
	s_mul_i32 s43, s19, s57
	s_mul_i32 s45, s25, s65
	s_mul_hi_u32 s42, s19, s57
	s_and_b32 s2, s12, 0x3ffffff
	s_lshr_b64 s[36:37], s[12:13], 26
	s_mul_i32 s47, s24, s55
	s_add_u32 s43, s45, s43
	s_mul_hi_u32 s46, s24, s55
	s_addc_u32 s42, s44, s42
	s_mul_i32 s49, s27, s21
	s_add_u32 s43, s43, s47
	s_mul_hi_u32 s48, s27, s21
	s_addc_u32 s42, s42, s46
	;; [unrolled: 4-line block ×5, first 2 shown]
	s_add_u32 s23, s23, s41
	s_addc_u32 s22, s22, s40
	s_mul_i32 s13, s2, 0x3d10
	s_add_u32 s23, s23, s30
	s_mul_hi_u32 s12, s2, 0x3d10
	s_addc_u32 s22, s22, s31
	s_add_u32 s13, s23, s13
	s_addc_u32 s22, s22, s12
	s_add_u32 s12, s13, s16
	s_addc_u32 s13, s22, s17
	s_lshl_b64 s[30:31], s[2:3], 10
	s_mul_i32 s2, s24, s66
	s_mul_hi_u32 s45, s24, s65
	s_mul_i32 s52, s14, s64
	s_mul_i32 s53, s26, s67
	s_lshr_b64 s[16:17], s[12:13], 26
	s_add_i32 s45, s45, s2
	s_mul_hi_u32 s2, s14, s64
	s_mul_hi_u32 s54, s26, s67
	s_add_u32 s52, s53, s52
	s_addc_u32 s2, s54, s2
	s_add_u32 s36, s52, s36
	s_addc_u32 s37, s2, s37
	s_mul_i32 s43, s19, s58
	s_mul_i32 s46, s25, s57
	s_mul_hi_u32 s42, s19, s58
	s_mul_hi_u32 s44, s25, s57
	s_and_b32 s2, s36, 0x3ffffff
	s_lshr_b64 s[36:37], s[36:37], 26
	s_mul_i32 s47, s24, s65
	s_add_u32 s43, s46, s43
	s_addc_u32 s42, s44, s42
	s_mul_i32 s49, s27, s55
	s_add_u32 s43, s43, s47
	s_mul_hi_u32 s48, s27, s55
	s_addc_u32 s42, s42, s45
	s_mul_i32 s51, s28, s21
	s_add_u32 s43, s43, s49
	s_mul_hi_u32 s50, s28, s21
	s_addc_u32 s42, s42, s48
	s_mul_i32 s23, s15, vcc_hi
	s_add_u32 s43, s43, s51
	s_mul_hi_u32 s22, s15, vcc_hi
	s_addc_u32 s42, s42, s50
	s_mul_i32 s39, s18, s0
	s_add_u32 s23, s43, s23
	s_mul_hi_u32 s38, s18, s0
	s_addc_u32 s22, s42, s22
	s_mul_i32 s41, s7, s1
	s_add_u32 s23, s23, s39
	s_mul_hi_u32 s40, s7, s1
	s_addc_u32 s22, s22, s38
	s_add_u32 s23, s23, s41
	s_addc_u32 s22, s22, s40
	s_mul_i32 s53, s2, 0x3d10
	s_add_u32 s23, s23, s30
	s_mul_hi_u32 s52, s2, 0x3d10
	s_addc_u32 s22, s22, s31
	s_add_u32 s23, s23, s53
	s_addc_u32 s22, s22, s52
	s_add_u32 s16, s23, s16
	s_addc_u32 s17, s22, s17
	s_lshl_b64 s[38:39], s[2:3], 10
	s_mul_hi_u32 s22, s15, s67
	s_mul_i32 s23, s15, s67
	s_mul_i32 s2, s27, s66
	s_mul_hi_u32 s15, s27, s65
	s_lshr_b64 s[30:31], s[16:17], 26
	s_add_i32 s47, s15, s2
	s_mul_i32 s2, s26, s64
	s_mul_hi_u32 s15, s26, s64
	s_mul_hi_u32 s49, s14, s21
	s_mul_i32 s50, s14, s21
	s_add_u32 s14, s36, s2
	s_addc_u32 s15, s37, s15
	s_mul_i32 s44, s19, s1
	s_mul_hi_u32 s45, s25, s58
	s_mul_i32 s25, s25, s58
	s_mul_hi_u32 s40, s18, vcc_hi
	s_mul_i32 s41, s18, vcc_hi
	s_mul_hi_u32 s43, s19, s1
	s_and_b32 s2, s14, 0x3ffffff
	s_lshr_b64 s[18:19], s[14:15], 26
	s_mul_hi_u32 s46, s24, s57
	s_mul_i32 s24, s24, s57
	s_add_u32 s25, s25, s44
	s_addc_u32 s37, s45, s43
	s_mul_i32 s27, s27, s65
	s_add_u32 s24, s25, s24
	s_addc_u32 s25, s37, s46
	s_mul_hi_u32 s48, s28, s55
	s_mul_i32 s28, s28, s55
	s_add_u32 s24, s24, s27
	s_addc_u32 s25, s25, s47
	s_add_u32 s24, s24, s28
	s_addc_u32 s25, s25, s48
	;; [unrolled: 2-line block ×4, first 2 shown]
	s_mul_hi_u32 s42, s7, s0
	s_mul_i32 s7, s7, s0
	s_add_u32 s23, s23, s41
	s_addc_u32 s22, s22, s40
	s_add_u32 s7, s23, s7
	s_addc_u32 s22, s22, s42
	v_alignbit_b32 v0, s15, s14, 26
	s_mul_i32 s36, s2, 0x3d10
	s_add_u32 s7, s7, s38
	s_mul_hi_u32 s26, s2, 0x3d10
	s_addc_u32 s14, s22, s39
	s_add_u32 s7, s7, s36
	s_addc_u32 s14, s14, s26
	s_add_u32 s26, s7, s30
	v_readfirstlane_b32 s7, v0
	s_addc_u32 s27, s14, s31
	s_lshl_b64 s[24:25], s[2:3], 10
	s_lshr_b64 s[14:15], s[26:27], 26
	v_writelane_b32 v20, s67, 24
	s_mul_i32 s2, s7, 0x3d10
	s_mul_hi_u32 s7, s7, 0x3d10
	s_add_u32 s2, s2, s6
	s_addc_u32 s6, s7, 0
	s_add_u32 s2, s2, s24
	s_addc_u32 s6, s6, s25
	s_add_u32 s30, s2, s14
	s_addc_u32 s31, s6, s15
	s_lshl_b64 s[14:15], s[18:19], 14
	s_lshr_b64 s[6:7], s[30:31], 22
	v_writelane_b32 v20, vcc_hi, 25
	s_add_u32 s6, s6, s14
	s_addc_u32 s7, s7, s15
	s_mul_hi_u32 s14, s6, 0x3d1
	s_mul_i32 s2, s7, 0x3d1
	s_mul_i32 s15, s6, 0x3d1
	s_add_i32 s14, s14, s2
	s_add_u32 s24, s15, s29
	s_addc_u32 s25, s14, 0
	s_lshl_b64 s[6:7], s[6:7], 6
	s_lshr_b64 s[14:15], s[24:25], 26
	s_add_u32 s2, s6, s34
	v_writelane_b32 v20, s66, 26
	s_addc_u32 s6, s7, 0
	s_add_u32 s28, s2, s14
	s_addc_u32 s29, s6, s15
	s_mov_b64 s[48:49], s[24:25]
	s_lshr_b64 s[6:7], s[28:29], 26
	v_writelane_b32 v20, s65, 27
	s_add_u32 s6, s6, s35
	s_mov_b32 s7, 11
	s_mov_b64 s[46:47], s[28:29]
	s_mov_b64 s[14:15], s[6:7]
	s_mov_b32 s72, s4
	s_mov_b64 s[36:37], s[4:5]
	s_mov_b64 s[34:35], s[8:9]
	;; [unrolled: 1-line block ×7, first 2 shown]
	v_writelane_b32 v20, s64, 28
.LBB0_9:                                ; =>This Inner Loop Header: Depth=1
	s_lshl_b32 s19, s48, 1
	s_lshl_b32 s22, s46, 1
	;; [unrolled: 1-line block ×4, first 2 shown]
	s_and_b32 s15, s42, 0x3ffffff
	s_and_b32 s2, s44, 0x3ffffff
	s_and_b32 s27, s19, 0x7fffffe
	s_and_b32 s25, s22, 0x7fffffe
	s_and_b32 s19, s23, 0x7fffffe
	s_and_b32 s22, s29, 0x7fffffe
	s_lshl_b32 s11, s14, 1
	s_and_b32 s13, s40, 0x3ffffff
	s_mul_i32 s88, s15, s19
	s_mul_i32 s90, s22, s2
	s_and_b32 s5, s50, 0x3fffff
	s_and_b32 s9, s38, 0x3ffffff
	s_mul_hi_u32 s71, s15, s19
	s_mul_hi_u32 s89, s22, s2
	s_mul_i32 s63, s13, s11
	s_mul_hi_u32 s85, s2, s2
	s_mul_i32 s86, s2, s2
	;; [unrolled: 2-line block ×6, first 2 shown]
	s_add_u32 s2, s88, s90
	s_mul_hi_u32 s87, s13, s11
	s_addc_u32 s71, s71, s89
	s_mul_i32 s70, s9, s25
	s_add_u32 s2, s2, s63
	s_mul_hi_u32 s69, s9, s25
	s_addc_u32 s63, s71, s87
	s_mul_i32 s62, s5, s27
	s_add_u32 s2, s2, s70
	s_mul_hi_u32 s23, s5, s27
	s_addc_u32 s63, s63, s69
	s_add_u32 s88, s2, s62
	s_addc_u32 s89, s63, s23
	s_mul_i32 s96, s15, s22
	s_and_b32 s2, s48, 0x3ffffff
	s_mul_hi_u32 s95, s15, s22
	s_and_b32 s48, s88, 0x3fffffe
	s_lshr_b64 s[88:89], s[88:89], 26
	s_mul_i32 s94, s13, s19
	s_mul_hi_u32 s23, s2, s2
	s_mul_i32 s62, s2, s2
	s_add_u32 s2, s96, s86
	s_mul_hi_u32 s93, s13, s19
	s_addc_u32 s63, s95, s85
	s_mul_i32 s82, s9, s11
	s_add_u32 s2, s2, s94
	s_mul_hi_u32 s80, s9, s11
	s_addc_u32 s63, s63, s93
	;; [unrolled: 4-line block ×3, first 2 shown]
	s_add_u32 s2, s2, s92
	s_addc_u32 s63, s63, s91
	s_add_u32 s86, s2, s88
	s_addc_u32 s87, s63, s89
	s_and_b32 s2, s86, 0x3ffffff
	s_lshr_b64 s[86:87], s[86:87], 26
	s_mul_i32 s63, s2, 0x3d10
	s_mul_hi_u32 s69, s2, 0x3d10
	s_add_u32 s88, s63, s62
	s_addc_u32 s89, s69, s23
	s_lshl_b32 s23, s44, 1
	s_lshl_b64 s[90:91], s[2:3], 10
	s_and_b32 s2, s46, 0x3ffffff
	s_and_b32 s23, s23, 0x7fffffe
	s_mul_hi_u32 s35, s15, s15
	s_mul_i32 s37, s15, s15
	s_mul_hi_u32 s39, s15, s11
	s_mul_i32 s47, s15, s11
	s_mul_i32 s100, s13, s22
	s_mul_hi_u32 s68, s15, s27
	s_mul_i32 s0, s15, s27
	s_mul_hi_u32 s83, s15, s25
	;; [unrolled: 2-line block ×6, first 2 shown]
	s_and_b32 s46, s88, 0x3fffffd
	s_lshr_b64 s[88:89], s[88:89], 26
	s_mul_i32 s98, s9, s19
	s_add_u32 s15, s100, s15
	s_mul_hi_u32 s97, s9, s19
	s_addc_u32 s2, s99, s2
	s_mul_i32 s59, s5, s11
	s_add_u32 s15, s15, s98
	s_mul_hi_u32 s45, s5, s11
	s_addc_u32 s2, s2, s97
	s_add_u32 s15, s15, s59
	s_addc_u32 s2, s2, s45
	s_add_u32 s44, s15, s86
	s_addc_u32 s45, s2, s87
	s_and_b32 s2, s44, 0x3ffffff
	s_lshr_b64 s[44:45], s[44:45], 26
	s_add_u32 s63, s90, s63
	s_addc_u32 s62, s91, s62
	s_mul_i32 s59, s2, 0x3d10
	s_add_u32 s63, s63, s88
	s_mul_hi_u32 s15, s2, 0x3d10
	s_addc_u32 s62, s62, s89
	s_add_u32 s86, s63, s59
	s_addc_u32 s87, s62, s15
	s_mul_i32 s80, s13, s23
	s_mul_hi_u32 s71, s13, s23
	s_lshl_b64 s[88:89], s[2:3], 10
	s_and_b32 s15, s86, 0x3ffffff
	s_lshr_b64 s[86:87], s[86:87], 26
	s_mul_i32 vcc_hi, s9, s22
	s_add_u32 s2, s80, s37
	s_mul_hi_u32 vcc_lo, s9, s22
	s_addc_u32 s35, s71, s35
	s_mul_i32 s104, s5, s19
	s_add_u32 s2, s2, vcc_hi
	s_mul_hi_u32 s103, s5, s19
	s_addc_u32 s35, s35, vcc_lo
	s_add_u32 s2, s2, s104
	s_addc_u32 s35, s35, s103
	s_add_u32 s44, s2, s44
	s_addc_u32 s45, s35, s45
	s_mul_i32 s102, s14, s27
	s_mul_hi_u32 s101, s14, s27
	s_and_b32 s2, s44, 0x3ffffff
	s_lshr_b64 s[44:45], s[44:45], 26
	s_add_u32 s59, s102, s70
	s_addc_u32 s62, s101, s69
	s_mul_i32 s37, s2, 0x3d10
	s_add_u32 s59, s59, s88
	s_mul_hi_u32 s35, s2, 0x3d10
	s_addc_u32 s62, s62, s89
	s_add_u32 s37, s59, s37
	s_addc_u32 s35, s62, s35
	s_add_u32 s86, s37, s86
	s_addc_u32 s87, s35, s87
	s_lshl_b32 s35, s42, 1
	s_lshl_b64 s[88:89], s[2:3], 10
	s_and_b32 s2, s36, 0x3ffffff
	s_and_b32 s35, s35, 0x7fffffe
	s_mul_hi_u32 s29, s13, s13
	s_mul_i32 s31, s13, s13
	s_mul_hi_u32 s60, s13, s27
	s_mul_i32 s81, s13, s27
	;; [unrolled: 2-line block ×3, first 2 shown]
	s_mul_i32 s85, s9, s23
	s_mul_hi_u32 s42, s2, s27
	s_mul_i32 s62, s2, s27
	s_mul_hi_u32 s63, s2, s25
	;; [unrolled: 2-line block ×6, first 2 shown]
	s_and_b32 s59, s86, 0x3ffffff
	s_lshr_b64 s[36:37], s[86:87], 26
	s_mul_hi_u32 s65, s5, s22
	s_mul_i32 s22, s5, s22
	s_add_u32 s13, s85, s13
	s_addc_u32 s2, s82, s2
	s_add_u32 s13, s13, s22
	s_addc_u32 s2, s2, s65
	;; [unrolled: 2-line block ×3, first 2 shown]
	s_mul_i32 s66, s25, s14
	s_mul_hi_u32 s67, s25, s14
	s_and_b32 s2, s44, 0x3ffffff
	s_lshr_b64 s[44:45], s[44:45], 26
	s_mul_hi_u32 s91, s9, s35
	s_mul_i32 s93, s9, s35
	s_mul_hi_u32 s94, s5, s35
	s_mul_i32 s95, s5, s35
	s_add_u32 s35, s62, s66
	s_addc_u32 s42, s42, s67
	s_mul_i32 s22, s2, 0x3d10
	s_add_u32 s35, s35, s88
	s_mul_hi_u32 s13, s2, 0x3d10
	s_addc_u32 s42, s42, s89
	s_add_u32 s22, s35, s22
	s_addc_u32 s13, s42, s13
	s_add_u32 s36, s22, s36
	s_addc_u32 s37, s13, s37
	s_lshl_b64 s[86:87], s[2:3], 10
	s_and_b32 s2, s34, 0x3ffffff
	s_lshr_b64 s[34:35], s[36:37], 26
	s_mul_hi_u32 s17, s14, s14
	s_mul_i32 s18, s14, s14
	s_mul_hi_u32 s14, s9, s27
	s_mul_i32 s53, s9, s27
	;; [unrolled: 2-line block ×8, first 2 shown]
	s_add_u32 s2, s93, s31
	s_addc_u32 s19, s91, s29
	s_add_u32 s2, s2, s23
	s_addc_u32 s19, s19, s92
	;; [unrolled: 2-line block ×3, first 2 shown]
	s_and_b32 s2, s44, 0x3ffffff
	s_lshr_b64 s[44:45], s[44:45], 26
	s_add_u32 s18, s69, s18
	s_addc_u32 s17, s63, s17
	s_add_u32 s18, s18, s22
	s_addc_u32 s13, s17, s13
	s_mul_i32 s23, s2, 0x3d10
	s_add_u32 s17, s18, s86
	s_mul_hi_u32 s19, s2, 0x3d10
	s_addc_u32 s13, s13, s87
	s_add_u32 s17, s17, s23
	s_addc_u32 s13, s13, s19
	s_add_u32 s34, s17, s34
	s_addc_u32 s35, s13, s35
	s_lshl_b32 s13, s40, 1
	s_lshl_b64 s[18:19], s[2:3], 10
	s_and_b32 s2, s13, 0x7fffffe
	s_mul_hi_u32 s41, s9, s9
	s_mul_i32 s43, s9, s9
	s_mul_hi_u32 s13, s2, s9
	s_mul_i32 s9, s2, s9
	s_lshr_b64 s[86:87], s[34:35], 26
	s_mul_hi_u32 s17, s5, s2
	s_mul_i32 s22, s5, s2
	s_add_u32 s2, s95, s9
	s_addc_u32 s9, s94, s13
	s_add_u32 s44, s2, s44
	s_addc_u32 s45, s9, s45
	s_and_b32 s2, s44, 0x3ffffff
	s_lshr_b64 s[88:89], s[44:45], 26
	s_add_u32 s23, s25, s71
	s_addc_u32 s25, s27, s70
	s_add_u32 s21, s23, s21
	s_addc_u32 s23, s25, s64
	s_mul_i32 s13, s2, 0x3d10
	s_add_u32 s18, s21, s18
	s_mul_hi_u32 s9, s2, 0x3d10
	s_addc_u32 s19, s23, s19
	s_add_u32 s13, s18, s13
	s_addc_u32 s9, s19, s9
	s_add_u32 s44, s13, s86
	s_addc_u32 s45, s9, s87
	s_lshl_b64 s[18:19], s[2:3], 10
	s_lshr_b64 s[86:87], s[44:45], 26
	s_add_u32 s2, s22, s43
	s_addc_u32 s9, s17, s41
	s_add_u32 s40, s2, s88
	s_addc_u32 s41, s9, s89
	s_and_b32 s2, s40, 0x3ffffff
	s_lshr_b64 s[40:41], s[40:41], 26
	s_add_u32 s11, s11, s90
	s_addc_u32 s17, s37, s80
	s_add_u32 s1, s11, s1
	s_addc_u32 s4, s17, s4
	;; [unrolled: 2-line block ×3, first 2 shown]
	s_mul_i32 s13, s2, 0x3d10
	s_add_u32 s0, s0, s18
	s_mul_hi_u32 s9, s2, 0x3d10
	s_addc_u32 s1, s1, s19
	s_add_u32 s0, s0, s13
	s_addc_u32 s1, s1, s9
	s_add_u32 s42, s0, s86
	s_addc_u32 s43, s1, s87
	s_lshl_b32 s0, s38, 1
	s_lshl_b64 s[18:19], s[2:3], 10
	s_and_b32 s0, s0, 0x7fffffe
	s_lshr_b64 s[68:69], s[42:43], 26
	s_mul_i32 s1, s0, s5
	s_mul_hi_u32 s0, s0, s5
	s_add_u32 s40, s40, s1
	s_addc_u32 s41, s41, s0
	s_and_b32 s2, s40, 0x3ffffff
	s_lshr_b64 s[86:87], s[40:41], 26
	s_add_u32 s4, s50, s65
	s_mul_hi_u32 s51, s5, s5
	s_mul_i32 s52, s5, s5
	s_addc_u32 s5, s49, s62
	s_add_u32 s4, s4, s84
	s_addc_u32 s5, s5, s83
	s_add_u32 s4, s4, s81
	s_addc_u32 s5, s5, s60
	s_mul_i32 s1, s2, 0x3d10
	s_add_u32 s4, s4, s18
	s_mul_hi_u32 s0, s2, 0x3d10
	s_addc_u32 s5, s5, s19
	s_add_u32 s1, s4, s1
	s_addc_u32 s0, s5, s0
	s_add_u32 s40, s1, s68
	s_addc_u32 s41, s0, s69
	s_lshl_b64 s[18:19], s[2:3], 10
	s_lshr_b64 s[68:69], s[40:41], 26
	s_add_u32 s50, s86, s52
	s_addc_u32 s51, s87, s51
	s_and_b32 s2, s50, 0x3ffffff
	s_lshr_b64 s[80:81], s[50:51], 26
	s_add_u32 s4, s58, s67
	s_addc_u32 s5, s57, s66
	s_add_u32 s4, s4, s47
	s_addc_u32 s5, s5, s39
	v_alignbit_b32 v0, s51, s50, 26
	s_add_u32 s4, s4, s55
	s_addc_u32 s5, s5, s54
	s_add_u32 s4, s4, s53
	s_addc_u32 s5, s5, s14
	s_mul_i32 s1, s2, 0x3d10
	s_add_u32 s4, s4, s18
	s_mul_hi_u32 s0, s2, 0x3d10
	v_readfirstlane_b32 s9, v0
	s_addc_u32 s5, s5, s19
	s_add_u32 s1, s4, s1
	s_addc_u32 s0, s5, s0
	s_add_u32 s38, s1, s68
	s_addc_u32 s39, s0, s69
	s_mul_hi_u32 s11, s9, 0x3d10
	s_mulk_i32 s9, 0x3d10
	s_lshl_b64 s[18:19], s[2:3], 10
	s_lshr_b64 s[50:51], s[38:39], 26
	s_add_u32 s0, s9, s48
	s_addc_u32 s1, s11, 0
	s_add_u32 s0, s0, s18
	s_addc_u32 s1, s1, s19
	;; [unrolled: 2-line block ×3, first 2 shown]
	s_lshl_b64 s[18:19], s[80:81], 14
	s_lshr_b64 s[48:49], s[50:51], 22
	s_delay_alu instid0(SALU_CYCLE_1)
	s_add_u32 s18, s48, s18
	s_addc_u32 s19, s49, s19
	s_mul_hi_u32 s0, s18, 0x3d1
	s_mul_i32 s1, s19, 0x3d1
	s_mul_i32 s2, s18, 0x3d1
	s_add_i32 s0, s0, s1
	s_add_u32 s48, s2, s46
	s_addc_u32 s49, s0, 0
	s_lshl_b64 s[18:19], s[18:19], 6
	s_lshr_b64 s[46:47], s[48:49], 26
	s_add_u32 s0, s18, s15
	s_addc_u32 s1, s19, 0
	s_add_u32 s46, s0, s46
	s_addc_u32 s47, s1, s47
	s_add_i32 s7, s7, -1
	s_lshr_b64 s[14:15], s[46:47], 26
	s_delay_alu instid0(SALU_CYCLE_1)
	s_add_u32 s14, s14, s59
	s_cmp_lg_u32 s7, 0
	s_cbranch_scc1 .LBB0_9
; %bb.10:
	s_and_b32 s2, s30, 0x3fffff
	s_and_b32 s18, s26, 0x3ffffff
	;; [unrolled: 1-line block ×6, first 2 shown]
	s_mul_i32 s10, s26, s27
	s_and_b32 s31, s44, 0x3ffffff
	s_and_b32 s34, s8, 0x3ffffff
	s_mul_i32 s8, s29, s30
	s_and_b32 s7, s48, 0x3ffffff
	s_and_b32 s15, s46, 0x3ffffff
	;; [unrolled: 1-line block ×3, first 2 shown]
	s_mul_hi_u32 s11, s26, s27
	s_mul_hi_u32 s12, s29, s30
	s_and_b32 s35, s42, 0x3ffffff
	s_and_b32 s36, s72, 0x3ffffff
	;; [unrolled: 1-line block ×7, first 2 shown]
	s_mul_i32 s16, s31, s34
	s_add_u32 s8, s8, s10
	s_mul_hi_u32 s13, s31, s34
	s_addc_u32 s10, s12, s11
	s_mul_i32 s21, s35, s36
	s_add_u32 s8, s8, s16
	s_mul_hi_u32 s17, s35, s36
	s_addc_u32 s10, s10, s13
	s_mul_i32 s23, s37, s6
	s_add_u32 s8, s8, s21
	s_mul_hi_u32 s22, s37, s6
	s_addc_u32 s10, s10, s17
	s_mul_i32 s24, s38, s39
	s_add_u32 s8, s8, s23
	s_mul_hi_u32 s25, s38, s39
	s_addc_u32 s10, s10, s22
	s_mul_i32 s42, s28, s40
	s_add_u32 s8, s8, s24
	s_mul_hi_u32 s41, s28, s40
	s_addc_u32 s10, s10, s25
	s_mul_i32 s1, s7, s2
	s_add_u32 s8, s8, s42
	s_mul_hi_u32 s0, s7, s2
	s_addc_u32 s10, s10, s41
	s_mul_i32 s4, s15, s18
	s_add_u32 s1, s8, s1
	s_mul_hi_u32 s3, s15, s18
	s_addc_u32 s0, s10, s0
	s_mul_i32 s9, s14, s19
	s_add_u32 s1, s1, s4
	s_mul_hi_u32 s5, s14, s19
	s_addc_u32 s0, s0, s3
	s_add_u32 s8, s1, s9
	s_addc_u32 s9, s0, s5
	s_mul_i32 s16, s26, s19
	s_mul_i32 s21, s29, s27
	s_and_b32 s3, s8, 0x3ffffff
	s_lshr_b64 s[8:9], s[8:9], 26
	s_mul_hi_u32 s13, s26, s19
	s_mul_hi_u32 s17, s29, s27
	s_mul_i32 s23, s31, s30
	s_add_u32 s16, s21, s16
	s_mul_hi_u32 s22, s31, s30
	s_addc_u32 s13, s17, s13
	s_mul_i32 s25, s35, s34
	s_add_u32 s16, s16, s23
	s_mul_hi_u32 s24, s35, s34
	s_addc_u32 s13, s13, s22
	;; [unrolled: 4-line block ×7, first 2 shown]
	s_add_u32 s10, s10, s12
	s_addc_u32 s4, s4, s11
	s_add_u32 s8, s10, s8
	s_addc_u32 s9, s4, s9
	s_and_b32 s4, s8, 0x3ffffff
	s_mul_i32 s1, s7, s40
	s_mul_i32 s10, s4, 0x3d10
	s_mul_hi_u32 s0, s7, s40
	s_lshr_b64 s[8:9], s[8:9], 26
	s_mul_hi_u32 s11, s4, 0x3d10
	s_add_u32 s10, s10, s1
	s_mov_b32 s5, 0
	s_addc_u32 s11, s11, s0
	s_mul_i32 s23, s26, s18
	s_mul_i32 s25, s29, s19
	s_and_b32 s41, s10, 0x3ffffff
	s_lshr_b64 s[10:11], s[10:11], 26
	s_lshl_b64 s[12:13], s[4:5], 10
	s_mul_hi_u32 s22, s26, s18
	s_mul_hi_u32 s24, s29, s19
	s_mul_i32 s43, s31, s27
	s_add_u32 s23, s25, s23
	s_mul_hi_u32 s42, s31, s27
	s_addc_u32 s22, s24, s22
	s_mul_i32 s45, s35, s30
	s_add_u32 s23, s23, s43
	s_mul_hi_u32 s44, s35, s30
	s_addc_u32 s22, s22, s42
	;; [unrolled: 4-line block ×6, first 2 shown]
	s_add_u32 s21, s23, s21
	s_addc_u32 s4, s22, s4
	s_add_u32 s8, s21, s8
	s_addc_u32 s9, s4, s9
	s_mul_i32 s1, s7, s39
	s_mul_i32 s17, s15, s40
	s_mul_hi_u32 s0, s7, s39
	s_mul_hi_u32 s16, s15, s40
	s_and_b32 s4, s8, 0x3ffffff
	s_lshr_b64 s[8:9], s[8:9], 26
	s_add_u32 s1, s17, s1
	s_addc_u32 s0, s16, s0
	s_add_u32 s1, s1, s12
	s_addc_u32 s0, s0, s13
	s_mul_i32 s22, s4, 0x3d10
	s_add_u32 s1, s1, s10
	s_mul_hi_u32 s21, s4, 0x3d10
	s_addc_u32 s0, s0, s11
	s_add_u32 s10, s1, s22
	s_addc_u32 s11, s0, s21
	s_mul_i32 s23, s26, s2
	s_mul_i32 s25, s29, s18
	s_and_b32 s42, s10, 0x3ffffff
	s_lshr_b64 s[10:11], s[10:11], 26
	s_lshl_b64 s[12:13], s[4:5], 10
	s_mul_hi_u32 s4, s26, s2
	s_mul_hi_u32 s24, s29, s18
	s_mul_i32 s44, s31, s19
	s_add_u32 s23, s25, s23
	s_mul_hi_u32 s43, s31, s19
	s_addc_u32 s4, s24, s4
	s_mul_i32 s46, s35, s27
	s_add_u32 s23, s23, s44
	s_mul_hi_u32 s45, s35, s27
	s_addc_u32 s4, s4, s43
	;; [unrolled: 4-line block ×5, first 2 shown]
	s_add_u32 s23, s23, s52
	s_addc_u32 s4, s4, s51
	s_add_u32 s8, s23, s8
	s_addc_u32 s9, s4, s9
	s_mul_i32 s1, s7, s6
	s_mul_i32 s17, s15, s39
	s_mul_hi_u32 s0, s7, s6
	s_mul_hi_u32 s16, s15, s39
	s_and_b32 s4, s8, 0x3ffffff
	s_lshr_b64 s[8:9], s[8:9], 26
	s_mul_i32 s22, s14, s40
	s_add_u32 s1, s17, s1
	s_mul_hi_u32 s21, s14, s40
	s_addc_u32 s0, s16, s0
	s_add_u32 s1, s1, s22
	s_addc_u32 s0, s0, s21
	s_mul_i32 s24, s4, 0x3d10
	s_add_u32 s1, s1, s12
	s_mul_hi_u32 s23, s4, 0x3d10
	s_addc_u32 s0, s0, s13
	s_add_u32 s1, s1, s24
	s_addc_u32 s0, s0, s23
	s_add_u32 s10, s1, s10
	s_addc_u32 s11, s0, s11
	s_mul_i32 s16, s29, s2
	s_mul_i32 s45, s31, s18
	s_and_b32 s43, s10, 0x3ffffff
	s_lshr_b64 s[10:11], s[10:11], 26
	s_lshl_b64 s[12:13], s[4:5], 10
	s_mul_hi_u32 s4, s29, s2
	s_mul_hi_u32 s17, s31, s18
	s_mul_i32 s47, s35, s19
	s_add_u32 s16, s45, s16
	s_mul_hi_u32 s46, s35, s19
	s_addc_u32 s4, s17, s4
	s_mul_i32 s49, s37, s27
	s_add_u32 s16, s16, s47
	s_mul_hi_u32 s48, s37, s27
	s_addc_u32 s4, s4, s46
	;; [unrolled: 4-line block ×4, first 2 shown]
	s_add_u32 s16, s16, s53
	s_addc_u32 s4, s4, s52
	s_add_u32 s8, s16, s8
	s_addc_u32 s9, s4, s9
	s_mul_i32 s1, s7, s36
	s_mul_i32 s44, s26, s40
	s_mul_hi_u32 s0, s7, s36
	s_mul_hi_u32 s25, s26, s40
	s_and_b32 s4, s8, 0x3ffffff
	s_lshr_b64 s[16:17], s[8:9], 26
	v_writelane_b32 v20, s78, 29
	s_mul_i32 s22, s15, s6
	s_add_u32 s1, s1, s44
	s_mul_hi_u32 s21, s15, s6
	s_addc_u32 s0, s0, s25
	s_mul_i32 s24, s14, s39
	s_add_u32 s1, s1, s22
	s_mul_hi_u32 s23, s14, s39
	s_addc_u32 s0, s0, s21
	s_add_u32 s1, s1, s24
	v_writelane_b32 v20, s77, 30
	s_addc_u32 s0, s0, s23
	s_mul_i32 s9, s4, 0x3d10
	s_add_u32 s1, s1, s12
	s_mul_hi_u32 s8, s4, 0x3d10
	s_addc_u32 s0, s0, s13
	s_add_u32 s1, s1, s9
	s_addc_u32 s0, s0, s8
	v_writelane_b32 v20, s76, 31
	s_add_u32 s76, s1, s10
	s_addc_u32 s77, s0, s11
	s_mul_i32 s47, s31, s2
	s_mul_i32 s49, s35, s18
	s_lshr_b64 s[10:11], s[76:77], 26
	s_lshl_b64 s[12:13], s[4:5], 10
	s_mul_hi_u32 s4, s31, s2
	s_mul_hi_u32 s48, s35, s18
	s_mul_i32 s51, s37, s19
	s_add_u32 s47, s49, s47
	s_mul_hi_u32 s50, s37, s19
	s_addc_u32 s4, s48, s4
	s_mul_i32 s53, s38, s27
	s_add_u32 s47, s47, s51
	s_mul_hi_u32 s52, s38, s27
	s_addc_u32 s4, s4, s50
	;; [unrolled: 4-line block ×3, first 2 shown]
	s_add_u32 s47, s47, s55
	s_addc_u32 s4, s4, s54
	s_add_u32 s16, s47, s16
	s_addc_u32 s17, s4, s17
	s_mul_i32 s44, s26, s39
	s_mul_i32 s46, s29, s40
	s_mul_hi_u32 s25, s26, s39
	s_mul_hi_u32 s45, s29, s40
	s_and_b32 s4, s16, 0x3ffffff
	s_lshr_b64 s[16:17], s[16:17], 26
	s_mul_i32 s1, s7, s34
	s_add_u32 s44, s46, s44
	s_mul_hi_u32 s0, s7, s34
	s_addc_u32 s25, s45, s25
	s_mul_i32 s22, s15, s36
	s_add_u32 s1, s44, s1
	s_mul_hi_u32 s21, s15, s36
	s_addc_u32 s0, s25, s0
	;; [unrolled: 4-line block ×3, first 2 shown]
	s_add_u32 s1, s1, s24
	s_addc_u32 s0, s0, s23
	s_mul_i32 s48, s4, 0x3d10
	s_add_u32 s1, s1, s12
	s_mul_hi_u32 s47, s4, 0x3d10
	s_addc_u32 s0, s0, s13
	s_add_u32 s1, s1, s48
	s_addc_u32 s0, s0, s47
	s_add_u32 s10, s1, s10
	s_addc_u32 s11, s0, s11
	s_mul_i32 s51, s35, s2
	s_mul_i32 s53, s37, s18
	s_lshr_b64 s[12:13], s[10:11], 26
	s_lshl_b64 s[24:25], s[4:5], 10
	s_mul_hi_u32 s4, s35, s2
	s_mul_hi_u32 s52, s37, s18
	s_mul_i32 s55, s38, s19
	s_add_u32 s51, s53, s51
	s_mul_hi_u32 s54, s38, s19
	s_addc_u32 s4, s52, s4
	s_mul_i32 s58, s28, s27
	s_add_u32 s51, s51, s55
	s_mul_hi_u32 s57, s28, s27
	s_addc_u32 s4, s4, s54
	s_add_u32 s51, s51, s58
	s_addc_u32 s4, s4, s57
	s_add_u32 s16, s51, s16
	s_addc_u32 s17, s4, s17
	s_mul_i32 s46, s26, s6
	s_mul_i32 s48, s29, s39
	s_mul_hi_u32 s45, s26, s6
	s_mul_hi_u32 s47, s29, s39
	s_and_b32 s4, s16, 0x3ffffff
	s_lshr_b64 s[16:17], s[16:17], 26
	s_mul_i32 s50, s31, s40
	s_add_u32 s46, s48, s46
	s_mul_hi_u32 s49, s31, s40
	s_addc_u32 s45, s47, s45
	s_mul_i32 s1, s7, s30
	s_add_u32 s46, s46, s50
	s_mul_hi_u32 s0, s7, s30
	s_addc_u32 s45, s45, s49
	;; [unrolled: 4-line block ×4, first 2 shown]
	s_add_u32 s1, s1, s44
	s_addc_u32 s0, s0, s23
	s_mul_i32 s52, s4, 0x3d10
	s_add_u32 s1, s1, s24
	s_mul_hi_u32 s51, s4, 0x3d10
	s_addc_u32 s0, s0, s25
	s_add_u32 s1, s1, s52
	s_addc_u32 s0, s0, s51
	s_add_u32 s12, s1, s12
	s_addc_u32 s13, s0, s13
	s_mul_i32 s46, s37, s2
	s_mul_i32 s58, s38, s18
	s_lshr_b64 s[24:25], s[12:13], 26
	s_lshl_b64 s[44:45], s[4:5], 10
	s_mul_hi_u32 s4, s37, s2
	s_mul_hi_u32 s47, s38, s18
	s_mul_i32 s60, s28, s19
	s_add_u32 s46, s58, s46
	s_mul_hi_u32 s59, s28, s19
	s_addc_u32 s4, s47, s4
	s_add_u32 s46, s46, s60
	s_addc_u32 s4, s4, s59
	s_add_u32 s16, s46, s16
	s_addc_u32 s17, s4, s17
	s_mul_i32 s50, s26, s36
	s_mul_i32 s52, s29, s6
	s_mul_hi_u32 s49, s26, s36
	s_mul_hi_u32 s51, s29, s6
	s_and_b32 s4, s16, 0x3ffffff
	s_lshr_b64 s[46:47], s[16:17], 26
	s_mul_i32 s54, s31, s39
	s_add_u32 s50, s52, s50
	s_mul_hi_u32 s53, s31, s39
	s_addc_u32 s49, s51, s49
	s_mul_i32 s57, s35, s40
	s_add_u32 s50, s50, s54
	s_mul_hi_u32 s55, s35, s40
	s_addc_u32 s49, s49, s53
	;; [unrolled: 4-line block ×5, first 2 shown]
	s_add_u32 s1, s1, s48
	s_addc_u32 s0, s0, s23
	s_mul_i32 s17, s4, 0x3d10
	s_add_u32 s1, s1, s44
	s_mul_hi_u32 s16, s4, 0x3d10
	s_addc_u32 s0, s0, s45
	s_add_u32 s1, s1, s17
	s_addc_u32 s0, s0, s16
	s_add_u32 s16, s1, s24
	s_addc_u32 s17, s0, s25
	s_mul_i32 s60, s38, s2
	s_mul_i32 s62, s28, s18
	s_lshr_b64 s[24:25], s[16:17], 26
	s_lshl_b64 s[44:45], s[4:5], 10
	s_mul_hi_u32 s4, s38, s2
	s_mul_hi_u32 s63, s28, s18
	s_add_u32 s60, s62, s60
	s_addc_u32 s4, s63, s4
	s_add_u32 s46, s60, s46
	s_addc_u32 s47, s4, s47
	s_mul_i32 s50, s26, s34
	s_mul_i32 s52, s29, s36
	s_mul_hi_u32 s49, s26, s34
	s_mul_hi_u32 s51, s29, s36
	s_and_b32 s4, s46, 0x3ffffff
	s_lshr_b64 s[46:47], s[46:47], 26
	s_mul_i32 s54, s31, s6
	s_add_u32 s50, s52, s50
	s_mul_hi_u32 s53, s31, s6
	s_addc_u32 s49, s51, s49
	s_mul_i32 s57, s35, s39
	s_add_u32 s50, s50, s54
	s_mul_hi_u32 s55, s35, s39
	s_addc_u32 s49, s49, s53
	;; [unrolled: 4-line block ×6, first 2 shown]
	s_add_u32 s1, s1, s48
	s_addc_u32 s0, s0, s23
	s_mul_i32 s62, s4, 0x3d10
	s_add_u32 s1, s1, s44
	s_mul_hi_u32 s60, s4, 0x3d10
	s_addc_u32 s0, s0, s45
	s_add_u32 s1, s1, s62
	s_addc_u32 s0, s0, s60
	s_add_u32 s24, s1, s24
	s_addc_u32 s25, s0, s25
	s_lshl_b64 s[48:49], s[4:5], 10
	s_mul_i32 s4, s28, s2
	s_lshr_b64 s[44:45], s[24:25], 26
	s_mul_hi_u32 s2, s28, s2
	s_mul_hi_u32 s21, s14, s27
	s_mul_i32 s22, s14, s27
	s_mul_hi_u32 s27, s29, s34
	s_mul_i32 s29, s29, s34
	;; [unrolled: 2-line block ×3, first 2 shown]
	s_add_u32 s6, s46, s4
	s_mul_hi_u32 s0, s7, s18
	s_mul_i32 s1, s7, s18
	s_addc_u32 s7, s47, s2
	s_mul_hi_u32 s23, s26, s30
	s_mul_i32 s26, s26, s30
	s_mul_hi_u32 s18, s15, s19
	s_mul_i32 s19, s15, s19
	s_and_b32 s4, s6, 0x3ffffff
	s_lshr_b64 s[14:15], s[6:7], 26
	s_mul_hi_u32 s30, s31, s36
	s_mul_i32 s31, s31, s36
	s_add_u32 s26, s29, s26
	s_addc_u32 s23, s27, s23
	s_add_u32 s26, s26, s31
	s_addc_u32 s23, s23, s30
	s_mul_hi_u32 s36, s37, s39
	s_mul_i32 s37, s37, s39
	s_add_u32 s26, s26, s35
	s_addc_u32 s23, s23, s34
	s_mul_hi_u32 s39, s38, s40
	s_mul_i32 s38, s38, s40
	s_add_u32 s26, s26, s37
	s_addc_u32 s23, s23, s36
	s_add_u32 s26, s26, s38
	s_addc_u32 s23, s23, s39
	;; [unrolled: 2-line block ×5, first 2 shown]
	v_alignbit_b32 v0, s7, s6, 26
	s_mul_i32 s28, s4, 0x3d10
	s_add_u32 s1, s1, s48
	s_mul_hi_u32 s2, s4, 0x3d10
	s_addc_u32 s0, s0, s49
	s_add_u32 s1, s1, s28
	s_addc_u32 s0, s0, s2
	s_add_u32 s28, s1, s44
	v_readfirstlane_b32 s1, v0
	s_addc_u32 s29, s0, s45
	s_lshl_b64 s[18:19], s[4:5], 10
	s_lshr_b64 s[6:7], s[28:29], 26
	v_writelane_b32 v19, s75, 0
	s_mul_i32 s0, s1, 0x3d10
	s_mul_hi_u32 s1, s1, 0x3d10
	s_add_u32 s0, s0, s3
	s_addc_u32 s1, s1, 0
	s_add_u32 s0, s0, s18
	s_addc_u32 s1, s1, s19
	;; [unrolled: 2-line block ×3, first 2 shown]
	s_lshl_b64 s[6:7], s[14:15], 14
	s_lshr_b64 s[2:3], s[30:31], 22
	v_writelane_b32 v19, s74, 1
	s_add_u32 s2, s2, s6
	s_addc_u32 s3, s3, s7
	s_mul_hi_u32 s1, s2, 0x3d1
	s_mul_i32 s0, s3, 0x3d1
	s_mul_i32 s4, s2, 0x3d1
	s_add_i32 s1, s1, s0
	s_add_u32 s6, s4, s41
	s_addc_u32 s7, s1, 0
	s_lshl_b64 s[2:3], s[2:3], 6
	s_lshr_b64 s[14:15], s[6:7], 26
	s_add_u32 s0, s2, s42
	s_addc_u32 s1, s3, 0
	s_add_u32 s26, s0, s14
	s_addc_u32 s27, s1, s15
	s_mov_b32 s56, s73
	s_lshr_b64 s[2:3], s[26:27], 26
	s_mov_b32 s3, 22
	s_add_u32 s74, s2, s43
	s_mov_b64 s[48:49], s[6:7]
	s_mov_b64 s[46:47], s[26:27]
	;; [unrolled: 1-line block ×10, first 2 shown]
.LBB0_11:                               ; =>This Inner Loop Header: Depth=1
	s_lshl_b32 s0, s48, 1
	s_lshl_b32 s19, s36, 1
	;; [unrolled: 1-line block ×4, first 2 shown]
	s_and_b32 s15, s42, 0x3ffffff
	s_and_b32 s4, s44, 0x3ffffff
	s_and_b32 s27, s0, 0x7fffffe
	s_and_b32 s19, s19, 0x7fffffe
	s_and_b32 s0, s21, 0x7fffffe
	s_lshl_b32 s11, s14, 1
	s_and_b32 s13, s40, 0x3ffffff
	s_and_b32 s25, s1, 0x7fffffe
	s_mul_i32 s64, s15, s19
	s_mul_i32 s66, s0, s4
	s_and_b32 s7, s50, 0x3fffff
	s_and_b32 s9, s38, 0x3ffffff
	s_mul_hi_u32 s62, s15, s19
	s_mul_hi_u32 s65, s0, s4
	s_mul_i32 s63, s13, s11
	s_mul_hi_u32 s85, s4, s4
	s_mul_i32 s86, s4, s4
	;; [unrolled: 2-line block ×3, first 2 shown]
	s_mul_hi_u32 vcc_lo, s4, s27
	s_mul_i32 vcc_hi, s4, s27
	s_mul_hi_u32 s8, s4, s25
	s_mul_i32 s72, s4, s25
	s_mul_hi_u32 s57, s4, s19
	s_mul_i32 s58, s4, s19
	s_add_u32 s4, s64, s66
	s_mul_hi_u32 s87, s13, s11
	s_addc_u32 s62, s62, s65
	s_mul_i32 s23, s9, s25
	s_add_u32 s4, s4, s63
	s_mul_hi_u32 s22, s9, s25
	s_addc_u32 s62, s62, s87
	;; [unrolled: 4-line block ×3, first 2 shown]
	s_add_u32 s88, s4, s21
	s_addc_u32 s89, s22, s1
	s_mul_i32 s91, s15, s0
	s_mul_hi_u32 s90, s15, s0
	s_and_b32 s1, s48, 0x3ffffff
	s_and_b32 s48, s88, 0x3fffffe
	s_lshr_b64 s[88:89], s[88:89], 26
	s_mul_i32 s71, s13, s19
	s_add_u32 s4, s91, s86
	s_mul_hi_u32 s70, s13, s19
	s_addc_u32 s22, s90, s85
	s_mul_i32 s82, s9, s11
	s_add_u32 s4, s4, s71
	s_mul_hi_u32 s80, s9, s11
	s_addc_u32 s22, s22, s70
	;; [unrolled: 4-line block ×3, first 2 shown]
	s_add_u32 s4, s4, s69
	s_addc_u32 s22, s22, s67
	s_add_u32 s86, s4, s88
	s_addc_u32 s87, s22, s89
	s_and_b32 s4, s86, 0x3ffffff
	s_mul_hi_u32 s21, s1, s1
	s_mul_i32 s1, s1, s1
	s_mul_i32 s22, s4, 0x3d10
	s_lshr_b64 s[86:87], s[86:87], 26
	s_mul_hi_u32 s23, s4, 0x3d10
	s_add_u32 s88, s22, s1
	s_addc_u32 s89, s23, s21
	s_lshl_b64 s[90:91], s[4:5], 10
	s_lshl_b32 s4, s44, 1
	s_mul_hi_u32 s35, s15, s15
	s_and_b32 s4, s4, 0x7fffffe
	s_mul_i32 s37, s15, s15
	s_mul_hi_u32 s39, s15, s11
	s_mul_i32 s47, s15, s11
	s_mul_i32 s95, s13, s0
	s_mul_hi_u32 s68, s15, s27
	s_mul_i32 s2, s15, s27
	s_mul_hi_u32 s83, s15, s25
	;; [unrolled: 2-line block ×4, first 2 shown]
	s_and_b32 s1, s46, 0x3ffffff
	s_and_b32 s46, s88, 0x3fffffd
	s_lshr_b64 s[88:89], s[88:89], 26
	s_mul_i32 s93, s9, s19
	s_mul_hi_u32 s62, s13, s4
	s_mul_i32 s63, s13, s4
	s_mul_hi_u32 s64, s9, s4
	s_mul_i32 s65, s9, s4
	s_mul_hi_u32 s66, s7, s4
	s_mul_i32 s67, s7, s4
	s_add_u32 s4, s95, s15
	s_mul_hi_u32 s92, s9, s19
	s_addc_u32 s15, s94, s44
	s_mul_i32 s59, s7, s11
	s_add_u32 s4, s4, s93
	s_mul_hi_u32 s45, s7, s11
	s_addc_u32 s15, s15, s92
	s_add_u32 s4, s4, s59
	s_addc_u32 s15, s15, s45
	s_add_u32 s44, s4, s86
	s_addc_u32 s45, s15, s87
	s_mul_i32 s22, s27, s1
	s_mul_hi_u32 s21, s27, s1
	s_and_b32 s4, s44, 0x3ffffff
	s_lshr_b64 s[44:45], s[44:45], 26
	s_add_u32 s22, s90, s22
	s_addc_u32 s21, s91, s21
	s_mul_i32 s59, s4, 0x3d10
	s_add_u32 s22, s22, s88
	s_mul_hi_u32 s15, s4, 0x3d10
	s_addc_u32 s21, s21, s89
	s_add_u32 s86, s22, s59
	s_addc_u32 s87, s21, s15
	s_lshl_b64 s[88:89], s[4:5], 10
	s_and_b32 s15, s86, 0x3ffffff
	s_lshr_b64 s[86:87], s[86:87], 26
	s_mul_i32 s101, s9, s0
	s_add_u32 s4, s63, s37
	s_mul_hi_u32 s100, s9, s0
	s_addc_u32 s21, s62, s35
	s_mul_i32 s99, s7, s19
	s_add_u32 s4, s4, s101
	s_mul_hi_u32 s98, s7, s19
	s_addc_u32 s21, s21, s100
	s_add_u32 s4, s4, s99
	s_addc_u32 s21, s21, s98
	s_add_u32 s44, s4, s44
	s_addc_u32 s45, s21, s45
	s_mul_i32 s97, s14, s27
	s_mul_hi_u32 s23, s1, s1
	s_mul_i32 s1, s1, s1
	s_mul_hi_u32 s96, s14, s27
	s_and_b32 s4, s44, 0x3ffffff
	s_lshr_b64 s[44:45], s[44:45], 26
	s_add_u32 s1, s97, s1
	s_addc_u32 s23, s96, s23
	s_mul_i32 s22, s4, 0x3d10
	s_add_u32 s1, s1, s88
	s_mul_hi_u32 s21, s4, 0x3d10
	s_addc_u32 s23, s23, s89
	s_add_u32 s1, s1, s22
	s_addc_u32 s21, s23, s21
	s_add_u32 s86, s1, s86
	s_addc_u32 s87, s21, s87
	s_lshl_b64 s[88:89], s[4:5], 10
	s_lshl_b32 s4, s42, 1
	s_mul_hi_u32 s29, s13, s13
	s_and_b32 s4, s4, 0x7fffffe
	s_mul_i32 s31, s13, s13
	s_mul_hi_u32 s60, s13, s27
	s_mul_i32 s81, s13, s27
	s_mul_hi_u32 s54, s13, s25
	s_mul_i32 s55, s13, s25
	s_mul_hi_u32 s35, s4, s13
	s_mul_i32 s13, s4, s13
	s_and_b32 s1, s36, 0x3ffffff
	s_and_b32 s59, s86, 0x3ffffff
	s_lshr_b64 s[36:37], s[86:87], 26
	s_mul_hi_u32 s104, s7, s0
	s_mul_i32 s0, s7, s0
	s_mul_hi_u32 s70, s9, s4
	s_mul_i32 s71, s9, s4
	s_mul_hi_u32 s80, s7, s4
	s_mul_i32 s82, s7, s4
	s_add_u32 s4, s65, s13
	s_addc_u32 s13, s64, s35
	s_add_u32 s0, s4, s0
	s_addc_u32 s4, s13, s104
	;; [unrolled: 2-line block ×3, first 2 shown]
	s_mul_i32 s103, s25, s14
	s_mul_i32 s22, s1, s27
	s_mul_hi_u32 s102, s25, s14
	s_mul_hi_u32 s21, s1, s27
	s_and_b32 s4, s44, 0x3ffffff
	s_lshr_b64 s[44:45], s[44:45], 26
	s_add_u32 s22, s22, s103
	s_addc_u32 s21, s21, s102
	s_mul_i32 s13, s4, 0x3d10
	s_add_u32 s22, s22, s88
	s_mul_hi_u32 s0, s4, 0x3d10
	s_addc_u32 s21, s21, s89
	s_add_u32 s13, s22, s13
	s_addc_u32 s0, s21, s0
	s_add_u32 s36, s13, s36
	s_addc_u32 s37, s0, s37
	s_lshl_b64 s[86:87], s[4:5], 10
	s_and_b32 s0, s34, 0x3ffffff
	s_lshr_b64 s[34:35], s[36:37], 26
	s_add_u32 s4, s71, s31
	s_mul_hi_u32 s37, s19, s0
	s_mul_i32 s64, s19, s0
	s_addc_u32 s19, s70, s29
	s_add_u32 s4, s4, s67
	s_addc_u32 s19, s19, s66
	s_add_u32 s44, s4, s44
	s_addc_u32 s45, s19, s45
	s_mul_i32 s18, s14, s14
	s_mul_i32 s42, s1, s25
	s_mul_hi_u32 s17, s14, s14
	s_mul_hi_u32 s23, s1, s25
	s_and_b32 s4, s44, 0x3ffffff
	s_lshr_b64 s[44:45], s[44:45], 26
	s_mul_i32 s21, s0, s27
	s_add_u32 s18, s42, s18
	s_mul_hi_u32 s13, s0, s27
	s_addc_u32 s17, s23, s17
	s_add_u32 s18, s18, s21
	s_addc_u32 s13, s17, s13
	s_mul_i32 s29, s4, 0x3d10
	s_add_u32 s17, s18, s86
	s_mul_hi_u32 s19, s4, 0x3d10
	s_addc_u32 s13, s13, s87
	s_add_u32 s17, s17, s29
	s_addc_u32 s13, s13, s19
	s_add_u32 s34, s17, s34
	s_addc_u32 s35, s13, s35
	s_lshl_b32 s13, s40, 1
	s_lshl_b64 s[18:19], s[4:5], 10
	s_and_b32 s4, s13, 0x7fffffe
	s_mul_hi_u32 s41, s9, s9
	s_mul_i32 s43, s9, s9
	s_mul_hi_u32 s14, s9, s27
	s_mul_i32 s53, s9, s27
	;; [unrolled: 2-line block ×3, first 2 shown]
	s_lshr_b64 s[86:87], s[34:35], 26
	s_mul_hi_u32 s17, s7, s4
	s_mul_i32 s21, s7, s4
	s_add_u32 s4, s82, s9
	s_addc_u32 s9, s80, s13
	s_add_u32 s44, s4, s44
	s_addc_u32 s45, s9, s45
	s_mul_i32 s63, s11, s1
	s_mul_hi_u32 s22, s0, s25
	s_mul_i32 s25, s0, s25
	s_mul_hi_u32 s62, s11, s1
	s_and_b32 s4, s44, 0x3ffffff
	s_lshr_b64 s[88:89], s[44:45], 26
	s_add_u32 s23, s25, s63
	s_addc_u32 s22, s22, s62
	s_add_u32 s23, s23, vcc_hi
	s_addc_u32 s22, s22, vcc_lo
	s_mul_i32 s13, s4, 0x3d10
	s_add_u32 s18, s23, s18
	s_mul_hi_u32 s9, s4, 0x3d10
	s_addc_u32 s19, s22, s19
	s_add_u32 s13, s18, s13
	s_addc_u32 s9, s19, s9
	s_add_u32 s44, s13, s86
	s_addc_u32 s45, s9, s87
	s_lshl_b64 s[18:19], s[4:5], 10
	s_lshr_b64 s[86:87], s[44:45], 26
	s_add_u32 s4, s21, s43
	s_addc_u32 s9, s17, s41
	s_add_u32 s40, s4, s88
	s_addc_u32 s41, s9, s89
	s_mul_hi_u32 s69, s1, s1
	s_mul_i32 s1, s1, s1
	s_mul_hi_u32 s27, s0, s11
	s_mul_i32 s11, s0, s11
	s_and_b32 s4, s40, 0x3ffffff
	s_lshr_b64 s[40:41], s[40:41], 26
	s_add_u32 s1, s11, s1
	s_addc_u32 s11, s27, s69
	s_add_u32 s1, s1, s72
	s_addc_u32 s8, s11, s8
	;; [unrolled: 2-line block ×3, first 2 shown]
	s_mul_i32 s13, s4, 0x3d10
	s_add_u32 s1, s1, s18
	s_mul_hi_u32 s9, s4, 0x3d10
	s_addc_u32 s2, s2, s19
	s_add_u32 s1, s1, s13
	s_addc_u32 s2, s2, s9
	s_add_u32 s42, s1, s86
	s_addc_u32 s43, s2, s87
	s_lshl_b32 s1, s38, 1
	s_lshl_b64 s[18:19], s[4:5], 10
	s_and_b32 s1, s1, 0x7fffffe
	s_lshr_b64 s[68:69], s[42:43], 26
	s_mul_i32 s2, s1, s7
	s_mul_hi_u32 s1, s1, s7
	s_add_u32 s40, s40, s2
	s_addc_u32 s41, s41, s1
	s_and_b32 s4, s40, 0x3ffffff
	s_lshr_b64 s[86:87], s[40:41], 26
	s_mul_hi_u32 s51, s7, s7
	s_mul_i32 s52, s7, s7
	s_add_u32 s7, s50, s64
	s_addc_u32 s8, s49, s37
	s_add_u32 s7, s7, s84
	s_addc_u32 s8, s8, s83
	;; [unrolled: 2-line block ×3, first 2 shown]
	s_mul_i32 s2, s4, 0x3d10
	s_add_u32 s7, s7, s18
	s_mul_hi_u32 s1, s4, 0x3d10
	s_addc_u32 s8, s8, s19
	s_add_u32 s2, s7, s2
	s_addc_u32 s1, s8, s1
	s_add_u32 s40, s2, s68
	s_addc_u32 s41, s1, s69
	s_lshl_b64 s[18:19], s[4:5], 10
	s_lshr_b64 s[68:69], s[40:41], 26
	s_add_u32 s50, s86, s52
	s_addc_u32 s51, s87, s51
	s_mul_hi_u32 s65, s0, s0
	s_mul_i32 s0, s0, s0
	s_and_b32 s4, s50, 0x3ffffff
	s_lshr_b64 s[80:81], s[50:51], 26
	s_add_u32 s0, s58, s0
	s_addc_u32 s7, s57, s65
	s_add_u32 s0, s0, s47
	s_addc_u32 s7, s7, s39
	v_alignbit_b32 v0, s51, s50, 26
	s_add_u32 s0, s0, s55
	s_addc_u32 s7, s7, s54
	s_add_u32 s0, s0, s53
	s_addc_u32 s7, s7, s14
	s_mul_i32 s2, s4, 0x3d10
	s_add_u32 s0, s0, s18
	s_mul_hi_u32 s1, s4, 0x3d10
	v_readfirstlane_b32 s8, v0
	s_addc_u32 s7, s7, s19
	s_add_u32 s0, s0, s2
	s_addc_u32 s1, s7, s1
	s_add_u32 s38, s0, s68
	s_addc_u32 s39, s1, s69
	s_mul_hi_u32 s9, s8, 0x3d10
	s_mulk_i32 s8, 0x3d10
	s_lshl_b64 s[18:19], s[4:5], 10
	s_lshr_b64 s[50:51], s[38:39], 26
	s_add_u32 s0, s8, s48
	s_addc_u32 s1, s9, 0
	s_add_u32 s0, s0, s18
	s_addc_u32 s1, s1, s19
	;; [unrolled: 2-line block ×3, first 2 shown]
	s_lshl_b64 s[18:19], s[80:81], 14
	s_lshr_b64 s[48:49], s[50:51], 22
	s_delay_alu instid0(SALU_CYCLE_1)
	s_add_u32 s18, s48, s18
	s_addc_u32 s19, s49, s19
	s_mul_hi_u32 s0, s18, 0x3d1
	s_mul_i32 s1, s19, 0x3d1
	s_mul_i32 s2, s18, 0x3d1
	s_add_i32 s0, s0, s1
	s_add_u32 s48, s2, s46
	s_addc_u32 s49, s0, 0
	s_lshl_b64 s[18:19], s[18:19], 6
	s_lshr_b64 s[46:47], s[48:49], 26
	s_add_u32 s0, s18, s15
	s_addc_u32 s1, s19, 0
	s_add_u32 s46, s0, s46
	s_addc_u32 s47, s1, s47
	s_add_i32 s3, s3, -1
	s_lshr_b64 s[14:15], s[46:47], 26
	s_delay_alu instid0(SALU_CYCLE_1)
	s_add_u32 s14, s14, s59
	s_cmp_lg_u32 s3, 0
	s_cbranch_scc1 .LBB0_11
; %bb.12:
	s_and_b32 s17, s36, 0x3ffffff
	s_and_b32 s55, s16, 0x3ffffff
	;; [unrolled: 1-line block ×4, first 2 shown]
	s_mul_i32 s12, s17, s55
	s_and_b32 s18, s44, 0x3ffffff
	s_and_b32 s58, s10, 0x3ffffff
	s_mul_i32 s10, s16, s57
	s_and_b32 s4, s48, 0x3ffffff
	s_and_b32 s3, s30, 0x3fffff
	;; [unrolled: 1-line block ×5, first 2 shown]
	s_mul_hi_u32 s13, s17, s55
	s_mul_hi_u32 s15, s16, s57
	s_and_b32 s19, s42, 0x3ffffff
	s_and_b32 s59, s76, 0x3ffffff
	;; [unrolled: 1-line block ×7, first 2 shown]
	s_mul_i32 s22, s18, s58
	s_add_u32 s10, s10, s12
	s_mul_hi_u32 s21, s18, s58
	s_addc_u32 s12, s15, s13
	s_mul_i32 s24, s19, s59
	s_add_u32 s10, s10, s22
	s_mul_hi_u32 s23, s19, s59
	s_addc_u32 s12, s12, s21
	;; [unrolled: 4-line block ×8, first 2 shown]
	s_add_u32 s8, s1, s11
	s_addc_u32 s9, s0, s9
	s_mul_i32 s13, s17, s54
	s_mul_i32 s22, s16, s55
	s_and_b32 s15, s8, 0x3ffffff
	s_lshr_b64 s[8:9], s[8:9], 26
	s_mul_hi_u32 s12, s17, s54
	s_mul_hi_u32 s21, s16, s55
	s_mul_i32 s24, s18, s57
	s_add_u32 s13, s22, s13
	s_mul_hi_u32 s23, s18, s57
	s_addc_u32 s12, s21, s12
	s_mul_i32 s26, s19, s58
	s_add_u32 s13, s13, s24
	s_mul_hi_u32 s25, s19, s58
	s_addc_u32 s12, s12, s23
	;; [unrolled: 4-line block ×7, first 2 shown]
	s_add_u32 s6, s6, s11
	s_addc_u32 s2, s2, s10
	s_add_u32 s8, s6, s8
	s_addc_u32 s9, s2, s9
	s_and_b32 s6, s8, 0x3ffffff
	s_mul_i32 s1, s4, s62
	s_mul_i32 s2, s6, 0x3d10
	s_mul_hi_u32 s0, s4, s62
	s_lshr_b64 s[8:9], s[8:9], 26
	s_mul_hi_u32 s11, s6, 0x3d10
	s_add_u32 s10, s2, s1
	s_mov_b32 s7, 0
	s_addc_u32 s11, s11, s0
	s_mul_i32 s24, s17, s53
	s_mul_i32 s26, s16, s54
	s_and_b32 s36, s10, 0x3ffffff
	s_lshr_b64 s[10:11], s[10:11], 26
	s_lshl_b64 s[12:13], s[6:7], 10
	s_mul_hi_u32 s23, s17, s53
	s_mul_hi_u32 s25, s16, s54
	s_mul_i32 s31, s18, s55
	s_add_u32 s24, s26, s24
	s_mul_hi_u32 s27, s18, s55
	s_addc_u32 s23, s25, s23
	s_mul_i32 s35, s19, s57
	s_add_u32 s24, s24, s31
	s_mul_hi_u32 s34, s19, s57
	s_addc_u32 s23, s23, s27
	;; [unrolled: 4-line block ×6, first 2 shown]
	s_add_u32 s22, s24, s22
	s_addc_u32 s6, s23, s6
	s_add_u32 s8, s22, s8
	s_addc_u32 s9, s6, s9
	s_mul_i32 s1, s4, s60
	s_mul_i32 s21, s5, s62
	s_mul_hi_u32 s0, s4, s60
	s_mul_hi_u32 s2, s5, s62
	s_and_b32 s6, s8, 0x3ffffff
	s_lshr_b64 s[8:9], s[8:9], 26
	s_add_u32 s1, s21, s1
	s_addc_u32 s0, s2, s0
	s_add_u32 s1, s1, s12
	s_addc_u32 s0, s0, s13
	s_mul_i32 s23, s6, 0x3d10
	s_add_u32 s1, s1, s10
	s_mul_hi_u32 s22, s6, 0x3d10
	s_addc_u32 s0, s0, s11
	s_add_u32 s10, s1, s23
	s_addc_u32 s11, s0, s22
	s_mul_i32 s24, s17, s3
	s_mul_i32 s26, s16, s53
	s_and_b32 s37, s10, 0x3ffffff
	s_lshr_b64 s[10:11], s[10:11], 26
	s_lshl_b64 s[12:13], s[6:7], 10
	s_mul_hi_u32 s6, s17, s3
	s_mul_hi_u32 s25, s16, s53
	s_mul_i32 s31, s18, s54
	s_add_u32 s24, s26, s24
	s_mul_hi_u32 s27, s18, s54
	s_addc_u32 s6, s25, s6
	s_mul_i32 s35, s19, s55
	s_add_u32 s24, s24, s31
	s_mul_hi_u32 s34, s19, s55
	s_addc_u32 s6, s6, s27
	s_mul_i32 s39, s28, s57
	s_add_u32 s24, s24, s35
	s_mul_hi_u32 s38, s28, s57
	s_addc_u32 s6, s6, s34
	s_mul_i32 s41, s29, s58
	s_add_u32 s24, s24, s39
	s_mul_hi_u32 s40, s29, s58
	s_addc_u32 s6, s6, s38
	s_mul_i32 s43, s30, s59
	s_add_u32 s24, s24, s41
	s_mul_hi_u32 s42, s30, s59
	s_addc_u32 s6, s6, s40
	s_add_u32 s24, s24, s43
	s_addc_u32 s6, s6, s42
	s_add_u32 s8, s24, s8
	s_addc_u32 s9, s6, s9
	s_mul_i32 s1, s4, s74
	s_mul_i32 s21, s5, s60
	s_mul_hi_u32 s0, s4, s74
	s_mul_hi_u32 s2, s5, s60
	s_and_b32 s6, s8, 0x3ffffff
	s_lshr_b64 s[8:9], s[8:9], 26
	s_mul_i32 s23, s14, s62
	s_add_u32 s1, s21, s1
	s_mul_hi_u32 s22, s14, s62
	s_addc_u32 s0, s2, s0
	s_add_u32 s1, s1, s23
	s_addc_u32 s0, s0, s22
	s_mul_i32 s25, s6, 0x3d10
	s_add_u32 s1, s1, s12
	s_mul_hi_u32 s24, s6, 0x3d10
	s_addc_u32 s0, s0, s13
	s_add_u32 s1, s1, s25
	s_addc_u32 s0, s0, s24
	s_add_u32 s10, s1, s10
	s_addc_u32 s11, s0, s11
	s_mul_i32 s24, s16, s3
	s_mul_i32 s31, s18, s53
	s_and_b32 s38, s10, 0x3ffffff
	s_lshr_b64 s[10:11], s[10:11], 26
	s_lshl_b64 s[12:13], s[6:7], 10
	s_mul_hi_u32 s6, s16, s3
	s_mul_hi_u32 s25, s18, s53
	s_mul_i32 s35, s19, s54
	s_add_u32 s24, s31, s24
	s_mul_hi_u32 s34, s19, s54
	s_addc_u32 s6, s25, s6
	s_mul_i32 s40, s28, s55
	s_add_u32 s24, s24, s35
	s_mul_hi_u32 s39, s28, s55
	s_addc_u32 s6, s6, s34
	;; [unrolled: 4-line block ×4, first 2 shown]
	s_add_u32 s24, s24, s44
	s_addc_u32 s6, s6, s43
	s_add_u32 s8, s24, s8
	s_addc_u32 s9, s6, s9
	s_mul_i32 s1, s4, s59
	s_mul_i32 s27, s17, s62
	s_mul_hi_u32 s0, s4, s59
	s_mul_hi_u32 s26, s17, s62
	s_and_b32 s6, s8, 0x3ffffff
	s_lshr_b64 s[24:25], s[8:9], 26
	s_mul_i32 s21, s5, s74
	s_add_u32 s1, s1, s27
	s_mul_hi_u32 s2, s5, s74
	s_addc_u32 s0, s0, s26
	s_mul_i32 s23, s14, s60
	s_add_u32 s1, s1, s21
	s_mul_hi_u32 s22, s14, s60
	s_addc_u32 s0, s0, s2
	s_add_u32 s1, s1, s23
	s_addc_u32 s0, s0, s22
	s_mul_i32 s9, s6, 0x3d10
	s_add_u32 s1, s1, s12
	s_mul_hi_u32 s8, s6, 0x3d10
	s_addc_u32 s0, s0, s13
	s_add_u32 s1, s1, s9
	s_addc_u32 s0, s0, s8
	s_add_u32 s84, s1, s10
	s_addc_u32 s85, s0, s11
	s_mul_i32 s35, s18, s3
	s_mul_i32 s40, s19, s53
	s_lshr_b64 s[10:11], s[84:85], 26
	s_lshl_b64 s[12:13], s[6:7], 10
	s_mul_hi_u32 s6, s18, s3
	s_mul_hi_u32 s39, s19, s53
	s_mul_i32 s42, s28, s54
	s_add_u32 s35, s40, s35
	s_mul_hi_u32 s41, s28, s54
	s_addc_u32 s6, s39, s6
	s_mul_i32 s44, s29, s55
	s_add_u32 s35, s35, s42
	s_mul_hi_u32 s43, s29, s55
	s_addc_u32 s6, s6, s41
	;; [unrolled: 4-line block ×3, first 2 shown]
	s_add_u32 s35, s35, s46
	s_addc_u32 s6, s6, s45
	s_add_u32 s24, s35, s24
	s_addc_u32 s25, s6, s25
	s_mul_i32 s27, s17, s60
	s_mul_i32 s34, s16, s62
	s_mul_hi_u32 s26, s17, s60
	s_mul_hi_u32 s31, s16, s62
	s_and_b32 s6, s24, 0x3ffffff
	s_lshr_b64 s[24:25], s[24:25], 26
	s_mul_i32 s1, s4, s58
	s_add_u32 s27, s34, s27
	s_mul_hi_u32 s0, s4, s58
	s_addc_u32 s26, s31, s26
	s_mul_i32 s21, s5, s59
	s_add_u32 s1, s27, s1
	s_mul_hi_u32 s2, s5, s59
	s_addc_u32 s0, s26, s0
	;; [unrolled: 4-line block ×3, first 2 shown]
	s_add_u32 s1, s1, s23
	s_addc_u32 s0, s0, s22
	s_mul_i32 s39, s6, 0x3d10
	s_add_u32 s1, s1, s12
	s_mul_hi_u32 s35, s6, 0x3d10
	s_addc_u32 s0, s0, s13
	s_add_u32 s1, s1, s39
	s_addc_u32 s0, s0, s35
	s_add_u32 s86, s1, s10
	s_addc_u32 s87, s0, s11
	s_mul_i32 s42, s19, s3
	s_mul_i32 s44, s28, s53
	s_lshr_b64 s[12:13], s[86:87], 26
	s_lshl_b64 s[26:27], s[6:7], 10
	s_mul_hi_u32 s6, s19, s3
	s_mul_hi_u32 s43, s28, s53
	s_mul_i32 s46, s29, s54
	s_add_u32 s42, s44, s42
	s_mul_hi_u32 s45, s29, s54
	s_addc_u32 s6, s43, s6
	s_mul_i32 s48, s30, s55
	s_add_u32 s42, s42, s46
	s_mul_hi_u32 s47, s30, s55
	s_addc_u32 s6, s6, s45
	s_add_u32 s42, s42, s48
	s_addc_u32 s6, s6, s47
	s_add_u32 s24, s42, s24
	s_addc_u32 s25, s6, s25
	s_mul_i32 s34, s17, s74
	s_mul_i32 s39, s16, s60
	s_mul_hi_u32 s31, s17, s74
	s_mul_hi_u32 s35, s16, s60
	s_and_b32 s6, s24, 0x3ffffff
	s_lshr_b64 s[24:25], s[24:25], 26
	s_mul_i32 s41, s18, s62
	s_add_u32 s34, s39, s34
	s_mul_hi_u32 s40, s18, s62
	s_addc_u32 s31, s35, s31
	s_mul_i32 s1, s4, s57
	s_add_u32 s34, s34, s41
	s_mul_hi_u32 s0, s4, s57
	s_addc_u32 s31, s31, s40
	s_mul_i32 s21, s5, s58
	s_add_u32 s1, s34, s1
	s_mul_hi_u32 s2, s5, s58
	s_addc_u32 s0, s31, s0
	s_mul_i32 s23, s14, s59
	s_add_u32 s1, s1, s21
	s_mul_hi_u32 s22, s14, s59
	s_addc_u32 s0, s0, s2
	s_add_u32 s1, s1, s23
	s_addc_u32 s0, s0, s22
	s_mul_i32 s43, s6, 0x3d10
	s_add_u32 s1, s1, s26
	s_mul_hi_u32 s42, s6, 0x3d10
	s_addc_u32 s0, s0, s27
	s_add_u32 s1, s1, s43
	s_addc_u32 s0, s0, s42
	s_add_u32 s12, s1, s12
	s_addc_u32 s13, s0, s13
	s_mul_i32 s40, s28, s3
	s_mul_i32 s48, s29, s53
	s_lshr_b64 s[26:27], s[12:13], 26
	s_lshl_b64 s[34:35], s[6:7], 10
	s_mul_hi_u32 s6, s28, s3
	s_mul_hi_u32 s41, s29, s53
	s_mul_i32 s50, s30, s54
	s_add_u32 s40, s48, s40
	s_mul_hi_u32 s49, s30, s54
	s_addc_u32 s6, s41, s6
	s_add_u32 s40, s40, s50
	s_addc_u32 s6, s6, s49
	s_add_u32 s24, s40, s24
	s_addc_u32 s25, s6, s25
	s_mul_i32 s39, s17, s59
	s_mul_i32 s43, s16, s74
	s_mul_hi_u32 s31, s17, s59
	s_mul_hi_u32 s42, s16, s74
	s_and_b32 s6, s24, 0x3ffffff
	s_lshr_b64 s[40:41], s[24:25], 26
	s_mul_i32 s45, s18, s60
	s_add_u32 s39, s43, s39
	s_mul_hi_u32 s44, s18, s60
	s_addc_u32 s31, s42, s31
	s_mul_i32 s47, s19, s62
	s_add_u32 s39, s39, s45
	s_mul_hi_u32 s46, s19, s62
	s_addc_u32 s31, s31, s44
	;; [unrolled: 4-line block ×5, first 2 shown]
	s_add_u32 s1, s1, s23
	s_addc_u32 s0, s0, s22
	s_mul_i32 s25, s6, 0x3d10
	s_add_u32 s1, s1, s34
	s_mul_hi_u32 s24, s6, 0x3d10
	s_addc_u32 s0, s0, s35
	s_add_u32 s1, s1, s25
	s_addc_u32 s0, s0, s24
	s_add_u32 s24, s1, s26
	s_addc_u32 s25, s0, s27
	v_writelane_b32 v19, s53, 2
	s_mul_i32 s50, s29, s3
	s_mul_i32 s51, s30, s53
	s_lshr_b64 s[26:27], s[24:25], 26
	s_lshl_b64 s[34:35], s[6:7], 10
	s_mul_hi_u32 s6, s29, s3
	s_mul_hi_u32 s52, s30, s53
	s_add_u32 s50, s51, s50
	s_addc_u32 s6, s52, s6
	s_add_u32 s40, s50, s40
	v_writelane_b32 v19, s54, 3
	s_addc_u32 s41, s6, s41
	s_mul_i32 s39, s17, s58
	s_mul_i32 s43, s16, s59
	s_mul_hi_u32 s31, s17, s58
	s_mul_hi_u32 s42, s16, s59
	s_and_b32 s6, s40, 0x3ffffff
	s_lshr_b64 s[40:41], s[40:41], 26
	s_mul_i32 s45, s18, s74
	s_add_u32 s39, s43, s39
	s_mul_hi_u32 s44, s18, s74
	s_addc_u32 s31, s42, s31
	v_writelane_b32 v19, s55, 4
	s_mul_i32 s47, s19, s60
	s_add_u32 s39, s39, s45
	s_mul_hi_u32 s46, s19, s60
	s_addc_u32 s31, s31, s44
	s_mul_i32 s49, s28, s62
	s_add_u32 s39, s39, s47
	s_mul_hi_u32 s48, s28, s62
	s_addc_u32 s31, s31, s46
	s_mul_i32 s1, s4, s54
	s_add_u32 s39, s39, s49
	v_writelane_b32 v19, s57, 5
	s_mul_hi_u32 s0, s4, s54
	s_addc_u32 s31, s31, s48
	s_mul_i32 s21, s5, s55
	s_add_u32 s1, s39, s1
	s_mul_hi_u32 s2, s5, s55
	s_addc_u32 s0, s31, s0
	s_mul_i32 s23, s14, s57
	s_add_u32 s1, s1, s21
	s_mul_hi_u32 s22, s14, s57
	s_addc_u32 s0, s0, s2
	v_writelane_b32 v19, s58, 6
	s_add_u32 s1, s1, s23
	s_addc_u32 s0, s0, s22
	s_mul_i32 s51, s6, 0x3d10
	s_add_u32 s1, s1, s34
	s_mul_hi_u32 s50, s6, 0x3d10
	s_addc_u32 s0, s0, s35
	s_add_u32 s1, s1, s51
	v_writelane_b32 v19, s59, 7
	s_addc_u32 s0, s0, s50
	s_add_u32 s26, s1, s26
	s_addc_u32 s27, s0, s27
	s_mul_hi_u32 s0, s4, s53
	s_mul_i32 s1, s4, s53
	s_mov_b32 s4, s74
	s_mul_hi_u32 s2, s5, s54
	s_mul_i32 s21, s5, s54
	v_writelane_b32 v19, s4, 8
	s_lshr_b64 s[34:35], s[26:27], 26
	s_lshl_b64 s[42:43], s[6:7], 10
	s_mul_i32 s31, s17, s57
	s_mul_i32 s44, s16, s58
	v_writelane_b32 v19, s5, 9
	s_mul_i32 s4, s30, s3
	s_mul_hi_u32 s5, s30, s3
	s_add_u32 s4, s40, s4
	s_addc_u32 s5, s41, s5
	s_mul_hi_u32 s23, s17, s57
	s_mul_hi_u32 s39, s16, s58
	s_and_b32 s6, s4, 0x3ffffff
	s_lshr_b64 s[16:17], s[4:5], 26
	s_mul_hi_u32 s45, s18, s59
	s_mul_i32 s18, s18, s59
	s_add_u32 s31, s44, s31
	s_addc_u32 s23, s39, s23
	s_mul_hi_u32 s46, s19, s74
	s_mul_i32 s19, s19, s74
	s_add_u32 s18, s31, s18
	s_addc_u32 s23, s23, s45
	;; [unrolled: 4-line block ×4, first 2 shown]
	s_add_u32 s18, s18, s29
	s_addc_u32 s19, s19, s48
	s_add_u32 s1, s18, s1
	s_addc_u32 s0, s19, s0
	s_mul_hi_u32 s22, s14, s55
	s_mul_i32 s14, s14, s55
	s_add_u32 s1, s1, s21
	s_addc_u32 s0, s0, s2
	s_add_u32 s1, s1, s14
	s_addc_u32 s0, s0, s22
	v_alignbit_b32 v0, s5, s4, 26
	s_mul_i32 s40, s6, 0x3d10
	s_add_u32 s1, s1, s42
	s_mul_hi_u32 s30, s6, 0x3d10
	s_addc_u32 s0, s0, s43
	s_add_u32 s1, s1, s40
	s_addc_u32 s0, s0, s30
	s_add_u32 s30, s1, s34
	v_readfirstlane_b32 s1, v0
	s_addc_u32 s31, s0, s35
	s_lshl_b64 s[18:19], s[6:7], 10
	s_lshr_b64 s[4:5], s[30:31], 26
	v_writelane_b32 v19, s60, 10
	s_mul_i32 s0, s1, 0x3d10
	s_mul_hi_u32 s1, s1, 0x3d10
	s_add_u32 s0, s0, s15
	s_addc_u32 s1, s1, 0
	s_add_u32 s0, s0, s18
	s_addc_u32 s1, s1, s19
	;; [unrolled: 2-line block ×3, first 2 shown]
	s_lshl_b64 s[14:15], s[16:17], 14
	s_lshr_b64 s[4:5], s[34:35], 22
	v_writelane_b32 v19, s62, 11
	s_add_u32 s4, s4, s14
	s_addc_u32 s5, s5, s15
	s_mul_hi_u32 s1, s4, 0x3d1
	s_mul_i32 s0, s5, 0x3d1
	s_mul_i32 s2, s4, 0x3d1
	s_add_i32 s1, s1, s0
	s_add_u32 s14, s2, s36
	s_addc_u32 s15, s1, 0
	s_lshl_b64 s[4:5], s[4:5], 6
	s_lshr_b64 s[16:17], s[14:15], 26
	s_add_u32 s0, s4, s37
	s_addc_u32 s1, s5, 0
	s_add_u32 s28, s0, s16
	s_addc_u32 s29, s1, s17
	s_mov_b64 s[50:51], s[14:15]
	s_lshr_b64 s[4:5], s[28:29], 26
	s_mov_b32 s5, 44
	s_add_u32 s4, s4, s38
	s_mov_b64 s[48:49], s[28:29]
	s_mov_b64 s[16:17], s[4:5]
	;; [unrolled: 1-line block ×9, first 2 shown]
	v_writelane_b32 v19, s3, 12
.LBB0_13:                               ; =>This Inner Loop Header: Depth=1
	s_lshl_b32 s0, s50, 1
	s_lshl_b32 s2, s38, 1
	s_lshl_b32 s21, s36, 1
	s_lshl_b32 s1, s48, 1
	s_and_b32 s17, s44, 0x3ffffff
	s_and_b32 s6, s46, 0x3ffffff
	;; [unrolled: 1-line block ×5, first 2 shown]
	s_lshl_b32 s13, s16, 1
	s_and_b32 s15, s42, 0x3ffffff
	s_and_b32 s27, s1, 0x7fffffe
	s_mul_i32 s62, s17, s25
	s_mul_i32 s65, s0, s6
	s_and_b32 s9, s52, 0x3fffff
	s_and_b32 s11, s40, 0x3ffffff
	s_mul_hi_u32 s23, s17, s25
	s_mul_hi_u32 s64, s0, s6
	s_mul_i32 s63, s15, s13
	s_mul_hi_u32 s95, s6, s6
	s_mul_i32 s96, s6, s6
	;; [unrolled: 2-line block ×6, first 2 shown]
	s_add_u32 s6, s62, s65
	s_mul_hi_u32 s97, s15, s13
	s_addc_u32 s23, s23, s64
	s_mul_i32 s22, s11, s27
	s_add_u32 s6, s6, s63
	s_mul_hi_u32 s21, s11, s27
	s_addc_u32 s23, s23, s97
	s_mul_i32 s2, s9, s29
	s_add_u32 s6, s6, s22
	s_mul_hi_u32 s1, s9, s29
	s_addc_u32 s21, s23, s21
	s_add_u32 s98, s6, s2
	s_addc_u32 s99, s21, s1
	s_mul_i32 s72, s17, s0
	s_mul_hi_u32 s71, s17, s0
	s_and_b32 s1, s50, 0x3ffffff
	s_and_b32 s50, s98, 0x3fffffe
	s_lshr_b64 s[98:99], s[98:99], 26
	s_mul_i32 s70, s15, s25
	s_add_u32 s6, s72, s96
	s_mul_hi_u32 s69, s15, s25
	s_addc_u32 s21, s71, s95
	s_mul_i32 s92, s11, s13
	s_add_u32 s6, s6, s70
	s_mul_hi_u32 s90, s11, s13
	s_addc_u32 s21, s21, s69
	;; [unrolled: 4-line block ×3, first 2 shown]
	s_add_u32 s6, s6, s67
	s_addc_u32 s21, s21, s66
	s_add_u32 s96, s6, s98
	s_addc_u32 s97, s21, s99
	s_and_b32 s6, s96, 0x3ffffff
	s_mul_hi_u32 s2, s1, s1
	s_mul_i32 s1, s1, s1
	s_mul_i32 s21, s6, 0x3d10
	s_lshr_b64 s[96:97], s[96:97], 26
	s_mul_hi_u32 s22, s6, 0x3d10
	s_add_u32 s98, s21, s1
	s_addc_u32 s99, s22, s2
	s_lshl_b32 s2, s46, 1
	s_mul_hi_u32 s37, s17, s17
	s_and_b32 s2, s2, 0x7fffffe
	s_mul_i32 s39, s17, s17
	s_mul_hi_u32 s41, s17, s13
	s_mul_i32 s49, s17, s13
	s_mul_i32 vcc_lo, s15, s0
	s_mul_hi_u32 s68, s17, s29
	s_mul_i32 s81, s17, s29
	s_mul_hi_u32 s93, s17, s27
	s_mul_i32 s94, s17, s27
	s_lshl_b64 s[100:101], s[6:7], 10
	s_mul_hi_u32 s6, s2, s17
	s_mul_i32 s17, s2, s17
	s_mul_hi_u32 s104, s15, s0
	s_and_b32 s1, s48, 0x3ffffff
	s_and_b32 s48, s98, 0x3fffffd
	s_lshr_b64 s[98:99], s[98:99], 26
	s_mul_i32 s103, s11, s25
	s_add_u32 s17, vcc_lo, s17
	s_mul_hi_u32 s102, s11, s25
	s_addc_u32 s6, s104, s6
	s_mul_i32 s88, s9, s13
	s_add_u32 s17, s17, s103
	s_mul_hi_u32 s47, s9, s13
	s_addc_u32 s6, s6, s102
	s_add_u32 s17, s17, s88
	s_addc_u32 s6, s6, s47
	s_add_u32 s46, s17, s96
	s_addc_u32 s47, s6, s97
	s_mul_i32 s22, s29, s1
	s_mul_hi_u32 s21, s29, s1
	s_and_b32 s6, s46, 0x3ffffff
	s_lshr_b64 s[46:47], s[46:47], 26
	s_add_u32 s22, s100, s22
	s_addc_u32 s21, s101, s21
	s_mul_i32 s67, s6, 0x3d10
	s_add_u32 s22, s22, s98
	s_mul_hi_u32 s17, s6, 0x3d10
	s_addc_u32 s21, s21, s99
	s_add_u32 s96, s22, s67
	s_addc_u32 s97, s21, s17
	s_mul_i32 s63, s15, s2
	s_mul_hi_u32 s62, s15, s2
	s_lshl_b64 s[98:99], s[6:7], 10
	s_and_b32 s17, s96, 0x3ffffff
	s_lshr_b64 s[96:97], s[96:97], 26
	s_mul_i32 s76, s11, s0
	s_add_u32 s6, s63, s39
	s_mul_hi_u32 s75, s11, s0
	s_addc_u32 s21, s62, s37
	s_mul_i32 s74, s9, s25
	s_add_u32 s6, s6, s76
	s_mul_hi_u32 s73, s9, s25
	s_addc_u32 s21, s21, s75
	s_add_u32 s6, s6, s74
	s_addc_u32 s21, s21, s73
	s_add_u32 s46, s6, s46
	s_addc_u32 s47, s21, s47
	s_mul_i32 s8, s16, s29
	s_mul_hi_u32 s23, s1, s1
	s_mul_i32 s1, s1, s1
	s_mul_hi_u32 vcc_hi, s16, s29
	s_and_b32 s6, s46, 0x3ffffff
	s_lshr_b64 s[46:47], s[46:47], 26
	s_add_u32 s1, s8, s1
	s_addc_u32 s8, vcc_hi, s23
	s_mul_i32 s22, s6, 0x3d10
	s_add_u32 s1, s1, s98
	s_mul_hi_u32 s21, s6, 0x3d10
	s_addc_u32 s8, s8, s99
	s_add_u32 s1, s1, s22
	s_addc_u32 s8, s8, s21
	s_add_u32 s96, s1, s96
	s_addc_u32 s97, s8, s97
	s_lshl_b64 s[98:99], s[6:7], 10
	s_lshl_b32 s6, s44, 1
	s_mul_hi_u32 s31, s15, s15
	s_and_b32 s6, s6, 0x7fffffe
	s_mul_i32 s35, s15, s15
	s_mul_hi_u32 s89, s15, s29
	s_mul_i32 s91, s15, s29
	s_mul_hi_u32 s57, s15, s27
	s_mul_i32 s58, s15, s27
	s_mul_i32 s65, s11, s2
	s_mul_hi_u32 s37, s6, s15
	s_mul_i32 s15, s6, s15
	s_mul_hi_u32 s64, s11, s2
	s_and_b32 s1, s38, 0x3ffffff
	s_and_b32 s88, s96, 0x3ffffff
	s_lshr_b64 s[38:39], s[96:97], 26
	s_mul_hi_u32 s79, s9, s0
	s_mul_i32 s0, s9, s0
	s_mul_hi_u32 s67, s11, s6
	s_mul_i32 s69, s11, s6
	s_mul_hi_u32 s70, s9, s6
	s_mul_i32 s71, s9, s6
	s_add_u32 s6, s65, s15
	s_addc_u32 s15, s64, s37
	s_add_u32 s0, s6, s0
	s_addc_u32 s6, s15, s79
	;; [unrolled: 2-line block ×3, first 2 shown]
	s_mul_i32 s78, s27, s16
	s_mul_i32 s21, s1, s29
	s_mul_hi_u32 s77, s27, s16
	s_mul_hi_u32 s8, s1, s29
	s_and_b32 s6, s46, 0x3ffffff
	s_lshr_b64 s[46:47], s[46:47], 26
	s_add_u32 s21, s21, s78
	s_addc_u32 s8, s8, s77
	s_mul_i32 s15, s6, 0x3d10
	s_add_u32 s21, s21, s98
	s_mul_hi_u32 s0, s6, 0x3d10
	s_addc_u32 s8, s8, s99
	s_add_u32 s15, s21, s15
	s_addc_u32 s0, s8, s0
	s_add_u32 s38, s15, s38
	s_addc_u32 s39, s0, s39
	s_lshl_b64 s[96:97], s[6:7], 10
	s_and_b32 s0, s36, 0x3ffffff
	s_lshr_b64 s[36:37], s[38:39], 26
	s_mul_hi_u32 s66, s9, s2
	s_mul_i32 s2, s9, s2
	s_add_u32 s6, s69, s35
	s_addc_u32 s31, s67, s31
	s_add_u32 s2, s6, s2
	s_addc_u32 s6, s31, s66
	;; [unrolled: 2-line block ×3, first 2 shown]
	s_mul_i32 s19, s16, s16
	s_mul_i32 s23, s1, s27
	s_mul_hi_u32 s18, s16, s16
	s_mul_hi_u32 s22, s1, s27
	s_and_b32 s6, s46, 0x3ffffff
	s_lshr_b64 s[46:47], s[46:47], 26
	s_mul_i32 s15, s0, s29
	s_add_u32 s19, s23, s19
	s_mul_hi_u32 s8, s0, s29
	s_addc_u32 s18, s22, s18
	s_add_u32 s15, s19, s15
	s_addc_u32 s8, s18, s8
	s_mul_i32 s31, s6, 0x3d10
	s_add_u32 s15, s15, s96
	s_mul_hi_u32 s2, s6, 0x3d10
	s_addc_u32 s8, s8, s97
	s_add_u32 s15, s15, s31
	s_addc_u32 s2, s8, s2
	s_add_u32 s36, s15, s36
	s_addc_u32 s37, s2, s37
	s_lshl_b32 s2, s42, 1
	s_lshl_b64 s[18:19], s[6:7], 10
	s_and_b32 s2, s2, 0x7fffffe
	s_lshr_b64 s[96:97], s[36:37], 26
	s_mul_i32 s8, s2, s11
	s_mul_hi_u32 s6, s2, s11
	s_add_u32 s8, s71, s8
	s_addc_u32 s6, s70, s6
	s_add_u32 s46, s8, s46
	s_addc_u32 s47, s6, s47
	s_mul_i32 s62, s13, s1
	s_mul_hi_u32 s21, s0, s27
	s_mul_i32 s27, s0, s27
	s_mul_hi_u32 s44, s13, s1
	s_and_b32 s6, s46, 0x3ffffff
	s_lshr_b64 s[98:99], s[46:47], 26
	s_add_u32 s22, s27, s62
	s_addc_u32 s21, s21, s44
	s_add_u32 s22, s22, s80
	s_addc_u32 s3, s21, s3
	s_mul_i32 s15, s6, 0x3d10
	s_add_u32 s18, s22, s18
	s_mul_hi_u32 s8, s6, 0x3d10
	s_addc_u32 s3, s3, s19
	s_add_u32 s15, s18, s15
	s_addc_u32 s3, s3, s8
	s_add_u32 s46, s15, s96
	s_addc_u32 s47, s3, s97
	s_mul_hi_u32 s43, s11, s11
	s_mul_i32 s45, s11, s11
	s_mul_hi_u32 s16, s11, s29
	s_mul_i32 s55, s11, s29
	;; [unrolled: 2-line block ×3, first 2 shown]
	s_lshl_b64 s[18:19], s[6:7], 10
	s_lshr_b64 s[96:97], s[46:47], 26
	s_add_u32 s2, s2, s45
	s_addc_u32 s3, s11, s43
	s_add_u32 s42, s2, s98
	s_addc_u32 s43, s3, s99
	s_mul_hi_u32 s63, s1, s1
	s_mul_i32 s1, s1, s1
	s_mul_hi_u32 s29, s0, s13
	s_mul_i32 s13, s0, s13
	s_and_b32 s6, s42, 0x3ffffff
	s_lshr_b64 s[42:43], s[42:43], 26
	s_add_u32 s1, s13, s1
	s_addc_u32 s8, s29, s63
	s_add_u32 s1, s1, s82
	s_addc_u32 s8, s8, s10
	;; [unrolled: 2-line block ×3, first 2 shown]
	s_mul_i32 s3, s6, 0x3d10
	s_add_u32 s1, s1, s18
	s_mul_hi_u32 s2, s6, 0x3d10
	s_addc_u32 s8, s8, s19
	s_add_u32 s1, s1, s3
	s_addc_u32 s2, s8, s2
	s_add_u32 s44, s1, s96
	s_addc_u32 s45, s2, s97
	s_lshl_b32 s1, s40, 1
	s_lshl_b64 s[18:19], s[6:7], 10
	s_and_b32 s1, s1, 0x7fffffe
	s_lshr_b64 s[68:69], s[44:45], 26
	s_mul_i32 s2, s1, s9
	s_mul_hi_u32 s1, s1, s9
	s_add_u32 s42, s42, s2
	s_addc_u32 s43, s43, s1
	s_mul_hi_u32 s39, s25, s0
	s_mul_i32 s25, s25, s0
	s_and_b32 s6, s42, 0x3ffffff
	s_lshr_b64 s[96:97], s[42:43], 26
	s_add_u32 s3, s52, s25
	s_addc_u32 s8, s51, s39
	s_add_u32 s3, s3, s94
	s_addc_u32 s8, s8, s93
	;; [unrolled: 2-line block ×3, first 2 shown]
	s_mul_i32 s2, s6, 0x3d10
	s_add_u32 s3, s3, s18
	s_mul_hi_u32 s1, s6, 0x3d10
	s_addc_u32 s8, s8, s19
	s_add_u32 s2, s3, s2
	s_addc_u32 s1, s8, s1
	s_add_u32 s42, s2, s68
	s_addc_u32 s43, s1, s69
	s_mul_i32 s54, s9, s9
	s_mul_hi_u32 s53, s9, s9
	s_lshl_b64 s[18:19], s[6:7], 10
	s_lshr_b64 s[68:69], s[42:43], 26
	s_add_u32 s52, s96, s54
	s_addc_u32 s53, s97, s53
	s_mul_hi_u32 s64, s0, s0
	s_mul_i32 s0, s0, s0
	s_and_b32 s6, s52, 0x3ffffff
	s_lshr_b64 s[90:91], s[52:53], 26
	s_add_u32 s0, s60, s0
	s_addc_u32 s3, s59, s64
	s_add_u32 s0, s0, s49
	s_addc_u32 s3, s3, s41
	v_alignbit_b32 v0, s53, s52, 26
	s_add_u32 s0, s0, s58
	s_addc_u32 s3, s3, s57
	s_add_u32 s0, s0, s55
	s_addc_u32 s3, s3, s16
	s_mul_i32 s2, s6, 0x3d10
	s_add_u32 s0, s0, s18
	s_mul_hi_u32 s1, s6, 0x3d10
	v_readfirstlane_b32 s8, v0
	s_addc_u32 s3, s3, s19
	s_add_u32 s0, s0, s2
	s_addc_u32 s1, s3, s1
	s_add_u32 s40, s0, s68
	s_addc_u32 s41, s1, s69
	s_mul_hi_u32 s9, s8, 0x3d10
	s_mulk_i32 s8, 0x3d10
	s_lshl_b64 s[18:19], s[6:7], 10
	s_lshr_b64 s[52:53], s[40:41], 26
	s_add_u32 s0, s8, s50
	s_addc_u32 s1, s9, 0
	s_add_u32 s0, s0, s18
	s_addc_u32 s1, s1, s19
	;; [unrolled: 2-line block ×3, first 2 shown]
	s_lshl_b64 s[18:19], s[90:91], 14
	s_lshr_b64 s[50:51], s[52:53], 22
	s_delay_alu instid0(SALU_CYCLE_1)
	s_add_u32 s18, s50, s18
	s_addc_u32 s19, s51, s19
	s_mul_hi_u32 s0, s18, 0x3d1
	s_mul_i32 s1, s19, 0x3d1
	s_mul_i32 s2, s18, 0x3d1
	s_add_i32 s0, s0, s1
	s_add_u32 s50, s2, s48
	s_addc_u32 s51, s0, 0
	s_lshl_b64 s[18:19], s[18:19], 6
	s_lshr_b64 s[48:49], s[50:51], 26
	s_add_u32 s0, s18, s17
	s_addc_u32 s1, s19, 0
	s_add_u32 s48, s0, s48
	s_addc_u32 s49, s1, s49
	s_add_i32 s5, s5, -1
	s_lshr_b64 s[16:17], s[48:49], 26
	s_delay_alu instid0(SALU_CYCLE_1)
	s_add_u32 s16, s16, s88
	s_cmp_lg_u32 s5, 0
	s_cbranch_scc1 .LBB0_13
; %bb.14:
	s_and_b32 s18, s38, 0x3ffffff
	s_and_b32 s90, s24, 0x3ffffff
	;; [unrolled: 1-line block ×4, first 2 shown]
	s_mul_i32 s11, s18, s90
	s_and_b32 s29, s46, 0x3ffffff
	s_and_b32 s92, s86, 0x3ffffff
	s_mul_i32 s13, s19, s91
	s_and_b32 s9, s50, 0x3ffffff
	s_and_b32 s5, s34, 0x3fffff
	;; [unrolled: 1-line block ×5, first 2 shown]
	s_mul_hi_u32 s10, s18, s90
	s_mul_hi_u32 s12, s19, s91
	s_and_b32 s30, s44, 0x3ffffff
	s_and_b32 s93, s84, 0x3ffffff
	;; [unrolled: 1-line block ×7, first 2 shown]
	s_mul_i32 s21, s29, s92
	s_add_u32 s11, s13, s11
	s_mul_hi_u32 s15, s29, s92
	s_addc_u32 s10, s12, s10
	s_mul_i32 s23, s30, s93
	s_add_u32 s11, s11, s21
	s_mul_hi_u32 s22, s30, s93
	s_addc_u32 s10, s10, s15
	;; [unrolled: 4-line block ×8, first 2 shown]
	s_add_u32 s10, s1, s8
	s_addc_u32 s11, s0, s6
	s_mul_i32 s14, s18, s89
	s_mul_i32 s21, s19, s90
	s_and_b32 s8, s10, 0x3ffffff
	s_lshr_b64 s[10:11], s[10:11], 26
	s_mul_hi_u32 s13, s18, s89
	s_mul_hi_u32 s15, s19, s90
	s_mul_i32 s23, s29, s91
	s_add_u32 s14, s21, s14
	s_mul_hi_u32 s22, s29, s91
	s_addc_u32 s13, s15, s13
	s_mul_i32 s25, s30, s92
	s_add_u32 s14, s14, s23
	s_mul_hi_u32 s24, s30, s92
	s_addc_u32 s13, s13, s22
	;; [unrolled: 4-line block ×7, first 2 shown]
	s_add_u32 s3, s3, s12
	s_addc_u32 s2, s2, s6
	s_add_u32 s10, s3, s10
	s_addc_u32 s11, s2, s11
	s_and_b32 s6, s10, 0x3ffffff
	s_mul_i32 s1, s9, s95
	s_mul_i32 s2, s6, 0x3d10
	s_mul_hi_u32 s0, s9, s95
	s_lshr_b64 s[10:11], s[10:11], 26
	s_mul_hi_u32 s3, s6, 0x3d10
	s_add_u32 s12, s2, s1
	s_mov_b32 s7, 0
	s_addc_u32 s13, s3, s0
	s_mul_i32 s23, s18, s88
	s_mul_i32 s25, s19, s89
	s_and_b32 s35, s12, 0x3ffffff
	s_lshr_b64 s[12:13], s[12:13], 26
	s_lshl_b64 s[14:15], s[6:7], 10
	s_mul_hi_u32 s22, s18, s88
	s_mul_hi_u32 s24, s19, s89
	s_mul_i32 s27, s29, s90
	s_add_u32 s23, s25, s23
	s_mul_hi_u32 s26, s29, s90
	s_addc_u32 s22, s24, s22
	s_mul_i32 s37, s30, s91
	s_add_u32 s23, s23, s27
	s_mul_hi_u32 s36, s30, s91
	s_addc_u32 s22, s22, s26
	;; [unrolled: 4-line block ×6, first 2 shown]
	s_add_u32 s21, s23, s21
	s_addc_u32 s6, s22, s6
	s_add_u32 s10, s21, s10
	s_addc_u32 s11, s6, s11
	s_mul_i32 s1, s9, s94
	s_mul_i32 s3, s17, s95
	s_mul_hi_u32 s0, s9, s94
	s_mul_hi_u32 s2, s17, s95
	s_and_b32 s6, s10, 0x3ffffff
	s_lshr_b64 s[10:11], s[10:11], 26
	s_add_u32 s1, s3, s1
	s_addc_u32 s0, s2, s0
	s_add_u32 s1, s1, s14
	s_addc_u32 s0, s0, s15
	s_mul_i32 s22, s6, 0x3d10
	s_add_u32 s1, s1, s12
	s_mul_hi_u32 s21, s6, 0x3d10
	s_addc_u32 s0, s0, s13
	s_add_u32 s12, s1, s22
	s_addc_u32 s13, s0, s21
	s_mul_i32 s23, s18, s5
	s_mul_i32 s25, s19, s88
	s_and_b32 s38, s12, 0x3ffffff
	s_lshr_b64 s[12:13], s[12:13], 26
	s_lshl_b64 s[14:15], s[6:7], 10
	s_mul_hi_u32 s6, s18, s5
	s_mul_hi_u32 s24, s19, s88
	s_mul_i32 s27, s29, s89
	s_add_u32 s23, s25, s23
	s_mul_hi_u32 s26, s29, s89
	s_addc_u32 s6, s24, s6
	s_mul_i32 s37, s30, s90
	s_add_u32 s23, s23, s27
	s_mul_hi_u32 s36, s30, s90
	s_addc_u32 s6, s6, s26
	;; [unrolled: 4-line block ×5, first 2 shown]
	s_add_u32 s23, s23, s44
	s_addc_u32 s6, s6, s43
	s_add_u32 s10, s23, s10
	s_addc_u32 s11, s6, s11
	s_mul_i32 s1, s9, s4
	s_mul_i32 s3, s17, s94
	s_mul_hi_u32 s0, s9, s4
	s_mul_hi_u32 s2, s17, s94
	s_and_b32 s6, s10, 0x3ffffff
	s_lshr_b64 s[10:11], s[10:11], 26
	s_mul_i32 s22, s16, s95
	s_add_u32 s1, s3, s1
	s_mul_hi_u32 s21, s16, s95
	s_addc_u32 s0, s2, s0
	s_add_u32 s1, s1, s22
	s_addc_u32 s0, s0, s21
	s_mul_i32 s24, s6, 0x3d10
	s_add_u32 s1, s1, s14
	s_mul_hi_u32 s23, s6, 0x3d10
	s_addc_u32 s0, s0, s15
	s_add_u32 s1, s1, s24
	s_addc_u32 s0, s0, s23
	s_add_u32 s12, s1, s12
	s_addc_u32 s13, s0, s13
	s_mul_i32 s24, s19, s5
	s_mul_i32 s27, s29, s88
	s_and_b32 s39, s12, 0x3ffffff
	s_lshr_b64 s[12:13], s[12:13], 26
	s_lshl_b64 s[14:15], s[6:7], 10
	s_mul_hi_u32 s6, s19, s5
	s_mul_hi_u32 s25, s29, s88
	s_mul_i32 s37, s30, s89
	s_add_u32 s24, s27, s24
	s_mul_hi_u32 s36, s30, s89
	s_addc_u32 s6, s25, s6
	s_mul_i32 s41, s31, s90
	s_add_u32 s24, s24, s37
	s_mul_hi_u32 s40, s31, s90
	s_addc_u32 s6, s6, s36
	;; [unrolled: 4-line block ×4, first 2 shown]
	s_add_u32 s24, s24, s45
	s_addc_u32 s6, s6, s44
	s_add_u32 s10, s24, s10
	s_addc_u32 s11, s6, s11
	s_mul_i32 s1, s9, s93
	s_mul_i32 s26, s18, s95
	s_mul_hi_u32 s0, s9, s93
	s_mul_hi_u32 s23, s18, s95
	s_and_b32 s6, s10, 0x3ffffff
	s_lshr_b64 s[24:25], s[10:11], 26
	s_mul_i32 s3, s17, s4
	s_add_u32 s1, s1, s26
	s_mul_hi_u32 s2, s17, s4
	s_addc_u32 s0, s0, s23
	s_mul_i32 s22, s16, s94
	s_add_u32 s1, s1, s3
	s_mul_hi_u32 s21, s16, s94
	s_addc_u32 s0, s0, s2
	s_add_u32 s1, s1, s22
	s_addc_u32 s0, s0, s21
	s_mul_i32 s11, s6, 0x3d10
	s_add_u32 s1, s1, s14
	s_mul_hi_u32 s10, s6, 0x3d10
	s_addc_u32 s0, s0, s15
	s_add_u32 s1, s1, s11
	s_addc_u32 s0, s0, s10
	s_add_u32 s10, s1, s12
	s_addc_u32 s11, s0, s13
	s_mul_i32 s37, s29, s5
	s_mul_i32 s41, s30, s88
	s_lshr_b64 s[12:13], s[10:11], 26
	s_lshl_b64 s[14:15], s[6:7], 10
	s_mul_hi_u32 s6, s29, s5
	s_mul_hi_u32 s40, s30, s88
	s_mul_i32 s43, s31, s89
	s_add_u32 s37, s41, s37
	s_mul_hi_u32 s42, s31, s89
	s_addc_u32 s6, s40, s6
	s_mul_i32 s45, s34, s90
	s_add_u32 s37, s37, s43
	s_mul_hi_u32 s44, s34, s90
	s_addc_u32 s6, s6, s42
	s_mul_i32 s47, s28, s91
	s_add_u32 s37, s37, s45
	s_mul_hi_u32 s46, s28, s91
	s_addc_u32 s6, s6, s44
	s_add_u32 s37, s37, s47
	s_addc_u32 s6, s6, s46
	s_add_u32 s24, s37, s24
	s_addc_u32 s25, s6, s25
	s_mul_i32 s26, s18, s94
	s_mul_i32 s36, s19, s95
	s_mul_hi_u32 s23, s18, s94
	s_mul_hi_u32 s27, s19, s95
	s_and_b32 s6, s24, 0x3ffffff
	s_lshr_b64 s[24:25], s[24:25], 26
	s_mul_i32 s1, s9, s92
	s_add_u32 s26, s36, s26
	s_mul_hi_u32 s0, s9, s92
	s_addc_u32 s23, s27, s23
	s_mul_i32 s3, s17, s93
	s_add_u32 s1, s26, s1
	s_mul_hi_u32 s2, s17, s93
	s_addc_u32 s0, s23, s0
	;; [unrolled: 4-line block ×3, first 2 shown]
	s_add_u32 s1, s1, s22
	s_addc_u32 s0, s0, s21
	s_mul_i32 s40, s6, 0x3d10
	s_add_u32 s1, s1, s14
	s_mul_hi_u32 s37, s6, 0x3d10
	s_addc_u32 s0, s0, s15
	s_add_u32 s1, s1, s40
	s_addc_u32 s0, s0, s37
	s_add_u32 s12, s1, s12
	s_addc_u32 s13, s0, s13
	s_mul_i32 s43, s30, s5
	s_mul_i32 s45, s31, s88
	s_lshr_b64 s[14:15], s[12:13], 26
	s_lshl_b64 s[26:27], s[6:7], 10
	s_mul_hi_u32 s6, s30, s5
	s_mul_hi_u32 s44, s31, s88
	s_mul_i32 s47, s34, s89
	s_add_u32 s43, s45, s43
	s_mul_hi_u32 s46, s34, s89
	s_addc_u32 s6, s44, s6
	s_mul_i32 s49, s28, s90
	s_add_u32 s43, s43, s47
	s_mul_hi_u32 s48, s28, s90
	s_addc_u32 s6, s6, s46
	s_add_u32 s43, s43, s49
	s_addc_u32 s6, s6, s48
	s_add_u32 s24, s43, s24
	s_addc_u32 s25, s6, s25
	s_mul_i32 s36, s18, s4
	s_mul_i32 s40, s19, s94
	s_mul_hi_u32 s23, s18, s4
	s_mul_hi_u32 s37, s19, s94
	s_and_b32 s6, s24, 0x3ffffff
	s_lshr_b64 s[24:25], s[24:25], 26
	s_mul_i32 s42, s29, s95
	s_add_u32 s36, s40, s36
	s_mul_hi_u32 s41, s29, s95
	s_addc_u32 s23, s37, s23
	s_mul_i32 s1, s9, s91
	s_add_u32 s36, s36, s42
	s_mul_hi_u32 s0, s9, s91
	s_addc_u32 s23, s23, s41
	s_mul_i32 s3, s17, s92
	s_add_u32 s1, s36, s1
	s_mul_hi_u32 s2, s17, s92
	s_addc_u32 s0, s23, s0
	s_mul_i32 s22, s16, s93
	s_add_u32 s1, s1, s3
	s_mul_hi_u32 s21, s16, s93
	s_addc_u32 s0, s0, s2
	s_add_u32 s1, s1, s22
	s_addc_u32 s0, s0, s21
	s_mul_i32 s44, s6, 0x3d10
	s_add_u32 s1, s1, s26
	s_mul_hi_u32 s43, s6, 0x3d10
	s_addc_u32 s0, s0, s27
	s_add_u32 s1, s1, s44
	s_addc_u32 s0, s0, s43
	s_add_u32 s14, s1, s14
	s_addc_u32 s15, s0, s15
	s_mul_i32 s40, s31, s5
	s_mul_i32 s49, s34, s88
	s_lshr_b64 s[26:27], s[14:15], 26
	s_lshl_b64 s[36:37], s[6:7], 10
	s_mul_hi_u32 s6, s31, s5
	s_mul_hi_u32 s41, s34, s88
	s_mul_i32 s51, s28, s89
	s_add_u32 s40, s49, s40
	s_mul_hi_u32 s50, s28, s89
	s_addc_u32 s6, s41, s6
	s_add_u32 s40, s40, s51
	s_addc_u32 s6, s6, s50
	s_add_u32 s24, s40, s24
	s_addc_u32 s25, s6, s25
	s_mul_i32 s42, s18, s93
	s_mul_i32 s44, s19, s4
	s_mul_hi_u32 s23, s18, s93
	s_mul_hi_u32 s43, s19, s4
	s_and_b32 s6, s24, 0x3ffffff
	s_lshr_b64 s[40:41], s[24:25], 26
	s_mul_i32 s46, s29, s94
	s_add_u32 s42, s44, s42
	s_mul_hi_u32 s45, s29, s94
	s_addc_u32 s23, s43, s23
	s_mul_i32 s48, s30, s95
	s_add_u32 s42, s42, s46
	s_mul_hi_u32 s47, s30, s95
	s_addc_u32 s23, s23, s45
	;; [unrolled: 4-line block ×5, first 2 shown]
	s_add_u32 s1, s1, s22
	s_addc_u32 s0, s0, s21
	s_mul_i32 s25, s6, 0x3d10
	s_add_u32 s1, s1, s36
	s_mul_hi_u32 s24, s6, 0x3d10
	s_addc_u32 s0, s0, s37
	s_add_u32 s1, s1, s25
	s_addc_u32 s0, s0, s24
	s_add_u32 s24, s1, s26
	s_addc_u32 s25, s0, s27
	s_mul_i32 s51, s34, s5
	s_mul_i32 s52, s28, s88
	s_lshr_b64 s[26:27], s[24:25], 26
	s_lshl_b64 s[36:37], s[6:7], 10
	s_mul_hi_u32 s6, s34, s5
	s_mul_hi_u32 s53, s28, s88
	s_add_u32 s51, s52, s51
	s_addc_u32 s6, s53, s6
	s_add_u32 s40, s51, s40
	s_addc_u32 s41, s6, s41
	s_mul_i32 s42, s18, s92
	s_mul_i32 s44, s19, s93
	s_mul_hi_u32 s23, s18, s92
	s_mul_hi_u32 s43, s19, s93
	s_and_b32 s6, s40, 0x3ffffff
	s_lshr_b64 s[40:41], s[40:41], 26
	s_mul_i32 s46, s29, s4
	s_add_u32 s42, s44, s42
	s_mul_hi_u32 s45, s29, s4
	s_addc_u32 s23, s43, s23
	s_mul_i32 s48, s30, s94
	s_add_u32 s42, s42, s46
	s_mul_hi_u32 s47, s30, s94
	s_addc_u32 s23, s23, s45
	;; [unrolled: 4-line block ×6, first 2 shown]
	s_add_u32 s1, s1, s22
	s_addc_u32 s0, s0, s21
	s_mul_i32 s52, s6, 0x3d10
	s_add_u32 s1, s1, s36
	s_mul_hi_u32 s51, s6, 0x3d10
	s_addc_u32 s0, s0, s37
	s_add_u32 s1, s1, s52
	s_addc_u32 s0, s0, s51
	s_add_u32 s26, s1, s26
	s_addc_u32 s27, s0, s27
	s_lshl_b64 s[42:43], s[6:7], 10
	s_mul_i32 s6, s28, s5
	s_lshr_b64 s[36:37], s[26:27], 26
	s_mul_hi_u32 s1, s17, s89
	s_mul_i32 s2, s17, s89
	s_mul_hi_u32 s17, s28, s5
	s_mul_hi_u32 s3, s16, s90
	s_mul_i32 s21, s16, s90
	s_add_u32 s16, s40, s6
	s_addc_u32 s17, s41, s17
	s_mul_i32 s23, s18, s91
	s_mul_i32 s45, s19, s92
	s_mul_hi_u32 s22, s18, s91
	s_mul_hi_u32 s44, s19, s92
	s_and_b32 s6, s16, 0x3ffffff
	s_lshr_b64 s[18:19], s[16:17], 26
	s_mul_hi_u32 s46, s29, s93
	s_mul_i32 s29, s29, s93
	s_add_u32 s23, s45, s23
	s_addc_u32 s22, s44, s22
	s_mul_hi_u32 s47, s30, s4
	s_mul_i32 s30, s30, s4
	s_add_u32 s23, s23, s29
	s_addc_u32 s22, s22, s46
	;; [unrolled: 4-line block ×5, first 2 shown]
	s_add_u32 s9, s23, s9
	s_addc_u32 s0, s22, s0
	s_add_u32 s2, s9, s2
	s_addc_u32 s0, s0, s1
	;; [unrolled: 2-line block ×3, first 2 shown]
	v_alignbit_b32 v0, s17, s16, 26
	s_mul_i32 s40, s6, 0x3d10
	s_add_u32 s1, s1, s42
	s_mul_hi_u32 s28, s6, 0x3d10
	s_addc_u32 s0, s0, s43
	s_add_u32 s1, s1, s40
	s_addc_u32 s0, s0, s28
	s_add_u32 s30, s1, s36
	v_readfirstlane_b32 s1, v0
	s_addc_u32 s31, s0, s37
	s_lshl_b64 s[28:29], s[6:7], 10
	s_lshr_b64 s[16:17], s[30:31], 26
	s_mov_b64 s[40:41], s[10:11]
	s_mul_i32 s0, s1, 0x3d10
	s_mul_hi_u32 s1, s1, 0x3d10
	s_add_u32 s0, s0, s8
	s_addc_u32 s1, s1, 0
	s_add_u32 s0, s0, s28
	s_addc_u32 s1, s1, s29
	;; [unrolled: 2-line block ×3, first 2 shown]
	s_lshl_b64 s[16:17], s[18:19], 14
	s_lshr_b64 s[8:9], s[36:37], 22
	s_mov_b64 s[48:49], s[14:15]
	s_add_u32 s8, s8, s16
	s_addc_u32 s9, s9, s17
	s_mul_hi_u32 s1, s8, 0x3d1
	s_mul_i32 s0, s9, 0x3d1
	s_mul_i32 s2, s8, 0x3d1
	s_add_i32 s1, s1, s0
	s_add_u32 s28, s2, s35
	s_addc_u32 s29, s1, 0
	s_lshl_b64 s[8:9], s[8:9], 6
	s_lshr_b64 s[16:17], s[28:29], 26
	s_add_u32 s0, s8, s38
	s_addc_u32 s1, s9, 0
	s_add_u32 s34, s0, s16
	s_mov_b32 s0, s10
	s_addc_u32 s35, s1, s17
	v_writelane_b32 v19, s0, 13
	s_lshr_b64 s[8:9], s[34:35], 26
	s_movk_i32 s9, 0x58
	s_add_u32 s8, s8, s39
	s_mov_b64 s[52:53], s[28:29]
	v_writelane_b32 v19, s1, 14
	s_mov_b32 s0, s12
	s_mov_b64 s[50:51], s[34:35]
	s_mov_b64 s[16:17], s[8:9]
	;; [unrolled: 1-line block ×3, first 2 shown]
	v_writelane_b32 v19, s0, 15
	s_mov_b64 s[46:47], s[24:25]
	s_mov_b64 s[44:45], s[26:27]
	s_mov_b64 s[42:43], s[30:31]
	s_mov_b64 s[54:55], s[36:37]
	v_writelane_b32 v19, s1, 16
	s_mov_b32 s0, s14
	s_delay_alu instid0(SALU_CYCLE_1)
	v_writelane_b32 v19, s0, 17
	v_writelane_b32 v19, s1, 18
.LBB0_15:                               ; =>This Inner Loop Header: Depth=1
	s_lshl_b32 s0, s52, 1
	s_lshl_b32 s2, s40, 1
	;; [unrolled: 1-line block ×4, first 2 shown]
	s_and_b32 s18, s46, 0x3ffffff
	s_and_b32 s6, s48, 0x3ffffff
	;; [unrolled: 1-line block ×5, first 2 shown]
	s_lshl_b32 s15, s16, 1
	s_and_b32 s17, s44, 0x3ffffff
	s_and_b32 s29, s1, 0x7fffffe
	s_mul_i32 s23, s18, s27
	s_mul_i32 s64, s0, s6
	s_and_b32 s11, s54, 0x3fffff
	s_and_b32 s13, s42, 0x3ffffff
	s_mul_hi_u32 s22, s18, s27
	s_mul_hi_u32 s62, s0, s6
	s_mul_i32 s68, s17, s15
	s_mul_hi_u32 vcc_lo, s6, s6
	s_mul_i32 vcc_hi, s6, s6
	s_mul_hi_u32 s53, s6, s15
	s_mul_i32 s54, s6, s15
	s_mul_hi_u32 s85, s6, s31
	s_mul_i32 s86, s6, s31
	;; [unrolled: 2-line block ×4, first 2 shown]
	s_add_u32 s6, s23, s64
	s_mul_hi_u32 s63, s17, s15
	s_addc_u32 s22, s22, s62
	s_mul_i32 s21, s13, s29
	s_add_u32 s6, s6, s68
	s_mul_hi_u32 s3, s13, s29
	s_addc_u32 s22, s22, s63
	s_mul_i32 s2, s11, s31
	s_add_u32 s6, s6, s21
	s_mul_hi_u32 s1, s11, s31
	s_addc_u32 s3, s22, s3
	s_add_u32 s62, s6, s2
	s_addc_u32 s63, s3, s1
	s_mul_i32 s72, s18, s0
	s_mul_hi_u32 s71, s18, s0
	s_and_b32 s1, s52, 0x3ffffff
	s_and_b32 s52, s62, 0x3fffffe
	s_lshr_b64 s[62:63], s[62:63], 26
	s_mul_i32 s70, s17, s27
	s_add_u32 s3, s72, vcc_hi
	s_mul_hi_u32 s67, s17, s27
	s_addc_u32 s6, s71, vcc_lo
	s_mul_i32 s102, s13, s15
	s_add_u32 s3, s3, s70
	s_mul_hi_u32 s100, s13, s15
	s_addc_u32 s6, s6, s67
	s_mul_i32 s66, s11, s29
	s_add_u32 s3, s3, s102
	s_mul_hi_u32 s65, s11, s29
	s_addc_u32 s6, s6, s100
	s_add_u32 s3, s3, s66
	s_addc_u32 s6, s6, s65
	s_add_u32 s62, s3, s62
	s_addc_u32 s63, s6, s63
	s_and_b32 s6, s62, 0x3ffffff
	s_mul_hi_u32 s2, s1, s1
	s_mul_i32 s1, s1, s1
	s_mul_i32 s3, s6, 0x3d10
	s_lshr_b64 s[62:63], s[62:63], 26
	s_mul_hi_u32 s21, s6, 0x3d10
	s_add_u32 vcc_lo, s3, s1
	s_addc_u32 vcc_hi, s21, s2
	s_lshl_b32 s2, s48, 1
	s_mul_hi_u32 s39, s18, s18
	s_and_b32 s2, s2, 0x7fffffe
	s_mul_i32 s41, s18, s18
	s_mul_hi_u32 s43, s18, s15
	s_mul_i32 s51, s18, s15
	s_mul_i32 s76, s17, s0
	s_mul_hi_u32 s69, s18, s31
	s_mul_i32 s87, s18, s31
	s_mul_hi_u32 s103, s18, s29
	s_mul_i32 s104, s18, s29
	s_lshl_b64 s[70:71], s[6:7], 10
	s_mul_hi_u32 s6, s2, s18
	s_mul_i32 s18, s2, s18
	s_mul_hi_u32 s75, s17, s0
	s_and_b32 s1, s50, 0x3ffffff
	s_and_b32 s50, vcc_lo, 0x3fffffd
	s_lshr_b64 vcc, vcc, 26
	s_mul_i32 s74, s13, s27
	s_add_u32 s18, s76, s18
	s_mul_hi_u32 s73, s13, s27
	s_addc_u32 s6, s75, s6
	s_mul_i32 s98, s11, s15
	s_add_u32 s18, s18, s74
	s_mul_hi_u32 s49, s11, s15
	s_addc_u32 s6, s6, s73
	s_add_u32 s18, s18, s98
	s_addc_u32 s6, s6, s49
	s_add_u32 s48, s18, s62
	s_addc_u32 s49, s6, s63
	s_mul_i32 s21, s31, s1
	s_mul_hi_u32 s3, s31, s1
	s_and_b32 s6, s48, 0x3ffffff
	s_lshr_b64 s[48:49], s[48:49], 26
	s_add_u32 s21, s70, s21
	s_addc_u32 s3, s71, s3
	s_mul_i32 s62, s6, 0x3d10
	s_add_u32 s21, s21, vcc_lo
	s_mul_hi_u32 s18, s6, 0x3d10
	s_addc_u32 s3, s3, vcc_hi
	s_add_u32 s62, s21, s62
	s_addc_u32 s63, s3, s18
	s_mul_i32 s64, s17, s2
	s_mul_hi_u32 s23, s17, s2
	s_lshl_b64 s[70:71], s[6:7], 10
	s_and_b32 s18, s62, 0x3ffffff
	s_lshr_b64 s[62:63], s[62:63], 26
	s_mul_i32 s82, s13, s0
	s_add_u32 s3, s64, s41
	s_mul_hi_u32 s81, s13, s0
	s_addc_u32 s6, s23, s39
	s_mul_i32 s80, s11, s27
	s_add_u32 s3, s3, s82
	s_mul_hi_u32 s79, s11, s27
	s_addc_u32 s6, s6, s81
	s_add_u32 s3, s3, s80
	s_addc_u32 s6, s6, s79
	s_add_u32 s48, s3, s48
	s_addc_u32 s49, s6, s49
	s_mul_i32 s78, s16, s31
	s_mul_hi_u32 s22, s1, s1
	s_mul_i32 s1, s1, s1
	s_mul_hi_u32 s77, s16, s31
	s_and_b32 s6, s48, 0x3ffffff
	s_lshr_b64 s[48:49], s[48:49], 26
	s_add_u32 s1, s78, s1
	s_addc_u32 s22, s77, s22
	s_mul_i32 s21, s6, 0x3d10
	s_add_u32 s1, s1, s70
	s_mul_hi_u32 s3, s6, 0x3d10
	s_addc_u32 s22, s22, s71
	s_add_u32 s1, s1, s21
	s_addc_u32 s3, s22, s3
	s_add_u32 s62, s1, s62
	s_addc_u32 s63, s3, s63
	s_lshl_b32 s3, s46, 1
	s_mul_hi_u32 s35, s17, s17
	s_and_b32 s3, s3, 0x7fffffe
	s_mul_i32 s37, s17, s17
	s_mul_hi_u32 s99, s17, s31
	s_mul_i32 s101, s17, s31
	s_mul_hi_u32 s59, s17, s29
	s_mul_i32 s60, s17, s29
	s_mul_i32 s66, s13, s2
	s_lshl_b64 s[70:71], s[6:7], 10
	s_mul_hi_u32 s6, s3, s17
	s_mul_i32 s17, s3, s17
	s_mul_hi_u32 s65, s13, s2
	s_and_b32 s1, s40, 0x3ffffff
	s_and_b32 s98, s62, 0x3ffffff
	s_lshr_b64 s[40:41], s[62:63], 26
	s_mul_hi_u32 s84, s11, s0
	s_mul_i32 s0, s11, s0
	s_add_u32 s17, s66, s17
	s_addc_u32 s6, s65, s6
	s_add_u32 s0, s17, s0
	s_addc_u32 s6, s6, s84
	;; [unrolled: 2-line block ×3, first 2 shown]
	s_mul_i32 s83, s29, s16
	s_mul_i32 s22, s1, s31
	s_mul_hi_u32 s10, s29, s16
	s_mul_hi_u32 s21, s1, s31
	s_and_b32 s6, s48, 0x3ffffff
	s_lshr_b64 s[48:49], s[48:49], 26
	s_add_u32 s22, s22, s83
	s_addc_u32 s10, s21, s10
	s_mul_i32 s17, s6, 0x3d10
	s_add_u32 s21, s22, s70
	s_mul_hi_u32 s0, s6, 0x3d10
	s_addc_u32 s10, s10, s71
	s_add_u32 s17, s21, s17
	s_addc_u32 s0, s10, s0
	s_add_u32 s40, s17, s40
	s_addc_u32 s41, s0, s41
	s_mul_i32 s74, s13, s3
	s_mul_hi_u32 s73, s13, s3
	s_lshl_b64 s[62:63], s[6:7], 10
	s_and_b32 s0, s38, 0x3ffffff
	s_lshr_b64 s[38:39], s[40:41], 26
	s_mul_hi_u32 s67, s11, s2
	s_mul_i32 s2, s11, s2
	s_add_u32 s6, s74, s37
	s_addc_u32 s35, s73, s35
	s_add_u32 s2, s6, s2
	s_addc_u32 s6, s35, s67
	;; [unrolled: 2-line block ×3, first 2 shown]
	s_mul_i32 s25, s16, s16
	s_mul_i32 s46, s1, s29
	s_mul_hi_u32 s19, s16, s16
	s_mul_hi_u32 s23, s1, s29
	s_and_b32 s6, s48, 0x3ffffff
	s_lshr_b64 s[48:49], s[48:49], 26
	s_mul_i32 s17, s0, s31
	s_add_u32 s25, s46, s25
	s_mul_hi_u32 s10, s0, s31
	s_addc_u32 s19, s23, s19
	s_add_u32 s17, s25, s17
	s_addc_u32 s10, s19, s10
	s_mul_i32 s35, s6, 0x3d10
	s_add_u32 s17, s17, s62
	s_mul_hi_u32 s2, s6, 0x3d10
	s_addc_u32 s10, s10, s63
	s_add_u32 s17, s17, s35
	s_addc_u32 s2, s10, s2
	s_add_u32 s38, s17, s38
	s_addc_u32 s39, s2, s39
	s_lshl_b32 s2, s44, 1
	s_mul_hi_u32 s75, s11, s3
	s_and_b32 s2, s2, 0x7fffffe
	s_mul_i32 s3, s11, s3
	s_mul_i32 s10, s2, s13
	s_lshl_b64 s[62:63], s[6:7], 10
	s_lshr_b64 s[70:71], s[38:39], 26
	s_mul_hi_u32 s6, s2, s13
	s_add_u32 s3, s3, s10
	s_addc_u32 s6, s75, s6
	s_add_u32 s48, s3, s48
	s_addc_u32 s49, s6, s49
	s_mul_i32 s68, s15, s1
	s_mul_i32 s22, s0, s29
	s_mul_hi_u32 s64, s15, s1
	s_mul_hi_u32 s21, s0, s29
	s_and_b32 s6, s48, 0x3ffffff
	s_lshr_b64 vcc, s[48:49], 26
	s_add_u32 s17, s22, s68
	s_addc_u32 s19, s21, s64
	s_add_u32 s17, s17, s86
	s_addc_u32 s19, s19, s85
	s_mul_i32 s10, s6, 0x3d10
	s_add_u32 s17, s17, s62
	s_mul_hi_u32 s3, s6, 0x3d10
	s_addc_u32 s19, s19, s63
	s_add_u32 s10, s17, s10
	s_addc_u32 s3, s19, s3
	s_add_u32 s48, s10, s70
	s_addc_u32 s49, s3, s71
	s_mul_hi_u32 s45, s13, s13
	s_mul_i32 s47, s13, s13
	s_mul_hi_u32 s16, s13, s31
	s_mul_i32 s58, s13, s31
	;; [unrolled: 2-line block ×3, first 2 shown]
	s_lshl_b64 s[62:63], s[6:7], 10
	s_lshr_b64 s[70:71], s[48:49], 26
	s_add_u32 s2, s2, s47
	s_addc_u32 s3, s13, s45
	s_add_u32 s44, s2, vcc_lo
	s_addc_u32 s45, s3, vcc_hi
	s_mul_hi_u32 s72, s1, s1
	s_mul_i32 s1, s1, s1
	s_mul_hi_u32 s29, s0, s15
	s_mul_i32 s15, s0, s15
	s_and_b32 s6, s44, 0x3ffffff
	s_lshr_b64 s[44:45], s[44:45], 26
	s_add_u32 s1, s15, s1
	s_addc_u32 s10, s29, s72
	s_add_u32 s1, s1, s14
	s_addc_u32 s10, s10, s12
	;; [unrolled: 2-line block ×3, first 2 shown]
	s_mul_i32 s3, s6, 0x3d10
	s_add_u32 s1, s1, s62
	s_mul_hi_u32 s2, s6, 0x3d10
	s_addc_u32 s10, s10, s63
	s_add_u32 s1, s1, s3
	s_addc_u32 s2, s10, s2
	s_add_u32 s46, s1, s70
	s_addc_u32 s47, s2, s71
	s_lshl_b32 s1, s42, 1
	s_lshl_b64 s[62:63], s[6:7], 10
	s_and_b32 s1, s1, 0x7fffffe
	s_lshr_b64 s[68:69], s[46:47], 26
	s_mul_i32 s2, s1, s11
	s_mul_hi_u32 s1, s1, s11
	s_add_u32 s44, s44, s2
	s_addc_u32 s45, s45, s1
	s_mul_hi_u32 s31, s27, s0
	s_mul_i32 s27, s27, s0
	s_and_b32 s6, s44, 0x3ffffff
	s_lshr_b64 s[70:71], s[44:45], 26
	s_add_u32 s3, s54, s27
	s_addc_u32 s10, s53, s31
	s_add_u32 s3, s3, s104
	s_addc_u32 s10, s10, s103
	;; [unrolled: 2-line block ×3, first 2 shown]
	s_mul_i32 s2, s6, 0x3d10
	s_add_u32 s3, s3, s62
	s_mul_hi_u32 s1, s6, 0x3d10
	s_addc_u32 s10, s10, s63
	s_add_u32 s2, s3, s2
	s_addc_u32 s1, s10, s1
	s_add_u32 s44, s2, s68
	s_addc_u32 s45, s1, s69
	s_mul_i32 s57, s11, s11
	s_mul_hi_u32 s55, s11, s11
	s_lshl_b64 s[62:63], s[6:7], 10
	s_lshr_b64 s[68:69], s[44:45], 26
	s_add_u32 s54, s70, s57
	s_addc_u32 s55, s71, s55
	s_mul_hi_u32 s41, s0, s0
	s_mul_i32 s0, s0, s0
	s_and_b32 s6, s54, 0x3ffffff
	s_lshr_b64 s[70:71], s[54:55], 26
	s_add_u32 s0, s97, s0
	s_addc_u32 s3, s96, s41
	s_add_u32 s0, s0, s51
	s_addc_u32 s3, s3, s43
	v_alignbit_b32 v0, s55, s54, 26
	s_add_u32 s0, s0, s60
	s_addc_u32 s3, s3, s59
	s_add_u32 s0, s0, s58
	s_addc_u32 s3, s3, s16
	s_mul_i32 s2, s6, 0x3d10
	s_add_u32 s0, s0, s62
	s_mul_hi_u32 s1, s6, 0x3d10
	v_readfirstlane_b32 s10, v0
	s_addc_u32 s3, s3, s63
	s_add_u32 s0, s0, s2
	s_addc_u32 s1, s3, s1
	s_add_u32 s42, s0, s68
	s_addc_u32 s43, s1, s69
	s_mul_hi_u32 s11, s10, 0x3d10
	s_mulk_i32 s10, 0x3d10
	s_lshl_b64 s[16:17], s[6:7], 10
	s_lshr_b64 s[54:55], s[42:43], 26
	s_add_u32 s0, s10, s52
	s_addc_u32 s1, s11, 0
	s_add_u32 s0, s0, s16
	s_addc_u32 s1, s1, s17
	;; [unrolled: 2-line block ×3, first 2 shown]
	s_lshl_b64 s[16:17], s[70:71], 14
	s_lshr_b64 s[52:53], s[54:55], 22
	s_delay_alu instid0(SALU_CYCLE_1)
	s_add_u32 s16, s52, s16
	s_addc_u32 s17, s53, s17
	s_mul_hi_u32 s0, s16, 0x3d1
	s_mul_i32 s1, s17, 0x3d1
	s_mul_i32 s2, s16, 0x3d1
	s_add_i32 s0, s0, s1
	s_add_u32 s52, s2, s50
	s_addc_u32 s53, s0, 0
	s_lshl_b64 s[16:17], s[16:17], 6
	s_lshr_b64 s[50:51], s[52:53], 26
	s_add_u32 s0, s16, s18
	s_addc_u32 s1, s17, 0
	s_add_u32 s50, s0, s50
	s_addc_u32 s51, s1, s51
	s_add_i32 s9, s9, -1
	s_lshr_b64 s[16:17], s[50:51], 26
	s_delay_alu instid0(SALU_CYCLE_1)
	s_add_u32 s16, s16, s98
	s_cmp_lg_u32 s9, 0
	s_cbranch_scc1 .LBB0_15
; %bb.16:
	v_readlane_b32 s12, v19, 17
	v_readlane_b32 s14, v19, 15
	;; [unrolled: 1-line block ×3, first 2 shown]
	s_and_b32 s9, s36, 0x3fffff
	s_and_b32 s31, s40, 0x3ffffff
	;; [unrolled: 1-line block ×5, first 2 shown]
	v_readlane_b32 s13, v19, 18
	s_mul_i32 s11, s31, s35
	s_and_b32 s38, s48, 0x3ffffff
	s_and_b32 s39, s14, 0x3ffffff
	s_mul_i32 s13, s36, s37
	s_and_b32 s18, s52, 0x3ffffff
	s_and_b32 s19, s50, 0x3ffffff
	;; [unrolled: 1-line block ×4, first 2 shown]
	s_mul_hi_u32 s10, s31, s35
	s_mul_hi_u32 s12, s36, s37
	v_readlane_b32 s15, v19, 16
	s_and_b32 s40, s46, 0x3ffffff
	s_and_b32 s41, s22, 0x3ffffff
	;; [unrolled: 1-line block ×7, first 2 shown]
	s_mul_i32 s15, s38, s39
	s_add_u32 s11, s13, s11
	s_mul_hi_u32 s14, s38, s39
	s_addc_u32 s10, s12, s10
	s_mul_i32 s21, s40, s41
	s_add_u32 s11, s11, s15
	v_readlane_b32 s23, v19, 14
	s_mul_hi_u32 s17, s40, s41
	s_addc_u32 s10, s10, s14
	s_mul_i32 s23, s43, s8
	s_add_u32 s11, s11, s21
	s_mul_hi_u32 s22, s43, s8
	s_addc_u32 s10, s10, s17
	s_mul_i32 s25, s42, s44
	s_add_u32 s11, s11, s23
	;; [unrolled: 4-line block ×6, first 2 shown]
	s_mul_hi_u32 s6, s16, s30
	s_addc_u32 s0, s0, s2
	s_add_u32 s10, s1, s7
	s_addc_u32 s11, s0, s6
	s_mul_i32 s14, s31, s30
	s_mul_i32 s21, s36, s35
	s_and_b32 s17, s10, 0x3ffffff
	s_lshr_b64 s[10:11], s[10:11], 26
	s_mul_hi_u32 s13, s31, s30
	s_mul_hi_u32 s15, s36, s35
	s_mul_i32 s23, s38, s37
	s_add_u32 s14, s21, s14
	s_mul_hi_u32 s22, s38, s37
	s_addc_u32 s13, s15, s13
	s_mul_i32 s25, s40, s39
	s_add_u32 s14, s14, s23
	s_mul_hi_u32 s24, s40, s39
	s_addc_u32 s13, s13, s22
	;; [unrolled: 4-line block ×7, first 2 shown]
	s_add_u32 s3, s3, s12
	s_addc_u32 s2, s2, s6
	s_add_u32 s10, s3, s10
	s_addc_u32 s11, s2, s11
	s_and_b32 s6, s10, 0x3ffffff
	s_mul_i32 s1, s18, s28
	s_mul_i32 s2, s6, 0x3d10
	s_mul_hi_u32 s0, s18, s28
	s_lshr_b64 s[10:11], s[10:11], 26
	s_mul_hi_u32 s3, s6, 0x3d10
	s_add_u32 s12, s2, s1
	s_mov_b32 s7, 0
	s_addc_u32 s13, s3, s0
	s_mul_i32 s23, s31, s29
	s_mul_i32 s25, s36, s30
	s_and_b32 s45, s12, 0x3ffffff
	s_lshr_b64 s[12:13], s[12:13], 26
	s_lshl_b64 s[14:15], s[6:7], 10
	s_mul_hi_u32 s22, s31, s29
	s_mul_hi_u32 s24, s36, s30
	s_mul_i32 s27, s38, s35
	s_add_u32 s23, s25, s23
	s_mul_hi_u32 s26, s38, s35
	s_addc_u32 s22, s24, s22
	s_mul_i32 s47, s40, s37
	s_add_u32 s23, s23, s27
	s_mul_hi_u32 s46, s40, s37
	s_addc_u32 s22, s22, s26
	;; [unrolled: 4-line block ×6, first 2 shown]
	s_add_u32 s21, s23, s21
	s_addc_u32 s6, s22, s6
	s_add_u32 s10, s21, s10
	s_addc_u32 s11, s6, s11
	s_mul_i32 s1, s18, s44
	s_mul_i32 s3, s19, s28
	s_mul_hi_u32 s0, s18, s44
	s_mul_hi_u32 s2, s19, s28
	s_and_b32 s6, s10, 0x3ffffff
	s_lshr_b64 s[10:11], s[10:11], 26
	s_add_u32 s1, s3, s1
	s_addc_u32 s0, s2, s0
	s_add_u32 s1, s1, s14
	s_addc_u32 s0, s0, s15
	s_mul_i32 s22, s6, 0x3d10
	s_add_u32 s1, s1, s12
	s_mul_hi_u32 s21, s6, 0x3d10
	s_addc_u32 s0, s0, s13
	s_add_u32 s12, s1, s22
	s_addc_u32 s13, s0, s21
	s_mul_i32 s23, s31, s9
	s_mul_i32 s25, s36, s29
	s_and_b32 s46, s12, 0x3ffffff
	s_lshr_b64 s[12:13], s[12:13], 26
	s_lshl_b64 s[14:15], s[6:7], 10
	s_mul_hi_u32 s6, s31, s9
	s_mul_hi_u32 s24, s36, s29
	s_mul_i32 s27, s38, s30
	s_add_u32 s23, s25, s23
	s_mul_hi_u32 s26, s38, s30
	s_addc_u32 s6, s24, s6
	s_mul_i32 s48, s40, s35
	s_add_u32 s23, s23, s27
	s_mul_hi_u32 s47, s40, s35
	s_addc_u32 s6, s6, s26
	;; [unrolled: 4-line block ×5, first 2 shown]
	s_add_u32 s23, s23, s54
	s_addc_u32 s6, s6, s53
	s_add_u32 s10, s23, s10
	s_addc_u32 s11, s6, s11
	s_mul_i32 s1, s18, s8
	s_mul_i32 s3, s19, s44
	s_mul_hi_u32 s0, s18, s8
	s_mul_hi_u32 s2, s19, s44
	s_and_b32 s6, s10, 0x3ffffff
	s_lshr_b64 s[10:11], s[10:11], 26
	s_mul_i32 s22, s16, s28
	s_add_u32 s1, s3, s1
	s_mul_hi_u32 s21, s16, s28
	s_addc_u32 s0, s2, s0
	s_add_u32 s1, s1, s22
	s_addc_u32 s0, s0, s21
	s_mul_i32 s24, s6, 0x3d10
	s_add_u32 s1, s1, s14
	s_mul_hi_u32 s23, s6, 0x3d10
	s_addc_u32 s0, s0, s15
	s_add_u32 s1, s1, s24
	s_addc_u32 s0, s0, s23
	s_add_u32 s12, s1, s12
	s_addc_u32 s13, s0, s13
	s_mul_i32 s24, s36, s9
	s_mul_i32 s27, s38, s29
	s_and_b32 s47, s12, 0x3ffffff
	s_lshr_b64 s[12:13], s[12:13], 26
	s_lshl_b64 s[14:15], s[6:7], 10
	s_mul_hi_u32 s6, s36, s9
	s_mul_hi_u32 s25, s38, s29
	s_mul_i32 s49, s40, s30
	s_add_u32 s24, s27, s24
	s_mul_hi_u32 s48, s40, s30
	s_addc_u32 s6, s25, s6
	s_mul_i32 s51, s43, s35
	s_add_u32 s24, s24, s49
	s_mul_hi_u32 s50, s43, s35
	s_addc_u32 s6, s6, s48
	;; [unrolled: 4-line block ×4, first 2 shown]
	s_add_u32 s24, s24, s55
	s_addc_u32 s6, s6, s54
	s_add_u32 s10, s24, s10
	s_addc_u32 s11, s6, s11
	s_mul_i32 s1, s18, s41
	s_mul_i32 s26, s31, s28
	s_mul_hi_u32 s0, s18, s41
	s_mul_hi_u32 s23, s31, s28
	s_and_b32 s6, s10, 0x3ffffff
	s_lshr_b64 s[24:25], s[10:11], 26
	s_mul_i32 s3, s19, s8
	s_add_u32 s1, s1, s26
	s_mul_hi_u32 s2, s19, s8
	s_addc_u32 s0, s0, s23
	s_mul_i32 s22, s16, s44
	s_add_u32 s1, s1, s3
	s_mul_hi_u32 s21, s16, s44
	s_addc_u32 s0, s0, s2
	s_add_u32 s1, s1, s22
	s_addc_u32 s0, s0, s21
	s_mul_i32 s11, s6, 0x3d10
	s_add_u32 s1, s1, s14
	s_mul_hi_u32 s10, s6, 0x3d10
	s_addc_u32 s0, s0, s15
	s_add_u32 s1, s1, s11
	s_addc_u32 s0, s0, s10
	s_add_u32 s10, s1, s12
	s_addc_u32 s11, s0, s13
	s_mul_i32 s48, s38, s9
	s_mul_i32 s50, s40, s29
	s_lshr_b64 s[12:13], s[10:11], 26
	s_lshl_b64 s[14:15], s[6:7], 10
	s_mul_hi_u32 s6, s38, s9
	s_mul_hi_u32 s49, s40, s29
	s_mul_i32 s52, s43, s30
	s_add_u32 s48, s50, s48
	s_mul_hi_u32 s51, s43, s30
	s_addc_u32 s6, s49, s6
	s_mul_i32 s54, s42, s35
	s_add_u32 s48, s48, s52
	s_mul_hi_u32 s53, s42, s35
	s_addc_u32 s6, s6, s51
	;; [unrolled: 4-line block ×3, first 2 shown]
	s_add_u32 s48, s48, s57
	s_addc_u32 s6, s6, s55
	s_add_u32 s24, s48, s24
	s_addc_u32 s25, s6, s25
	s_mul_i32 s23, s31, s44
	s_mul_i32 s27, s36, s28
	s_mul_hi_u32 s22, s31, s44
	s_mul_hi_u32 s26, s36, s28
	s_and_b32 s6, s24, 0x3ffffff
	s_lshr_b64 s[24:25], s[24:25], 26
	s_mul_i32 s1, s18, s39
	s_add_u32 s23, s27, s23
	s_mul_hi_u32 s0, s18, s39
	s_addc_u32 s22, s26, s22
	s_mul_i32 s3, s19, s41
	s_add_u32 s1, s23, s1
	s_mul_hi_u32 s2, s19, s41
	s_addc_u32 s0, s22, s0
	s_mul_i32 s21, s16, s8
	s_add_u32 s1, s1, s3
	s_mul_hi_u32 s11, s16, s8
	s_addc_u32 s0, s0, s2
	s_add_u32 s1, s1, s21
	s_addc_u32 s0, s0, s11
	s_mul_i32 s49, s6, 0x3d10
	s_add_u32 s1, s1, s14
	s_mul_hi_u32 s48, s6, 0x3d10
	s_addc_u32 s0, s0, s15
	s_add_u32 s1, s1, s49
	s_addc_u32 s0, s0, s48
	s_add_u32 s12, s1, s12
	s_addc_u32 s13, s0, s13
	s_mul_i32 s51, s40, s9
	s_mul_i32 s53, s43, s29
	s_lshr_b64 s[14:15], s[12:13], 26
	s_lshl_b64 s[26:27], s[6:7], 10
	s_mul_hi_u32 s6, s40, s9
	s_mul_hi_u32 s52, s43, s29
	s_mul_i32 s55, s42, s30
	s_add_u32 s51, s53, s51
	s_mul_hi_u32 s54, s42, s30
	s_addc_u32 s6, s52, s6
	s_mul_i32 s58, s34, s35
	s_add_u32 s51, s51, s55
	s_mul_hi_u32 s57, s34, s35
	s_addc_u32 s6, s6, s54
	s_add_u32 s51, s51, s58
	s_addc_u32 s6, s6, s57
	s_add_u32 s24, s51, s24
	s_addc_u32 s25, s6, s25
	s_mul_i32 s22, s31, s8
	s_mul_i32 s48, s36, s44
	s_mul_hi_u32 s21, s31, s8
	s_mul_hi_u32 s23, s36, s44
	s_and_b32 s6, s24, 0x3ffffff
	s_lshr_b64 s[24:25], s[24:25], 26
	s_mul_i32 s50, s38, s28
	s_add_u32 s22, s48, s22
	s_mul_hi_u32 s49, s38, s28
	s_addc_u32 s21, s23, s21
	s_mul_i32 s1, s18, s37
	s_add_u32 s22, s22, s50
	s_mul_hi_u32 s0, s18, s37
	s_addc_u32 s21, s21, s49
	;; [unrolled: 4-line block ×4, first 2 shown]
	s_add_u32 s1, s1, s13
	s_addc_u32 s0, s0, s11
	s_mul_i32 s52, s6, 0x3d10
	s_add_u32 s1, s1, s26
	s_mul_hi_u32 s51, s6, 0x3d10
	s_addc_u32 s0, s0, s27
	s_add_u32 s1, s1, s52
	s_addc_u32 s0, s0, s51
	s_add_u32 s14, s1, s14
	s_addc_u32 s15, s0, s15
	s_mul_i32 s50, s43, s9
	s_mul_i32 s57, s42, s29
	s_lshr_b64 s[26:27], s[14:15], 26
	s_lshl_b64 s[48:49], s[6:7], 10
	s_mul_hi_u32 s6, s43, s9
	s_mul_hi_u32 s51, s42, s29
	s_mul_i32 s59, s34, s30
	s_add_u32 s50, s57, s50
	s_mul_hi_u32 s58, s34, s30
	s_addc_u32 s6, s51, s6
	s_add_u32 s50, s50, s59
	s_addc_u32 s6, s6, s58
	s_add_u32 s24, s50, s24
	s_addc_u32 s25, s6, s25
	s_mul_i32 s21, s31, s41
	s_mul_i32 s23, s36, s8
	s_mul_hi_u32 s15, s31, s41
	s_mul_hi_u32 s22, s36, s8
	s_and_b32 s6, s24, 0x3ffffff
	s_lshr_b64 s[50:51], s[24:25], 26
	s_mul_i32 s53, s38, s44
	s_add_u32 s21, s23, s21
	s_mul_hi_u32 s52, s38, s44
	s_addc_u32 s15, s22, s15
	s_mul_i32 s55, s40, s28
	s_add_u32 s21, s21, s53
	s_mul_hi_u32 s54, s40, s28
	s_addc_u32 s15, s15, s52
	;; [unrolled: 4-line block ×5, first 2 shown]
	s_add_u32 s1, s1, s13
	s_addc_u32 s0, s0, s11
	s_mul_i32 s25, s6, 0x3d10
	s_add_u32 s1, s1, s48
	s_mul_hi_u32 s24, s6, 0x3d10
	s_addc_u32 s0, s0, s49
	s_add_u32 s1, s1, s25
	s_addc_u32 s0, s0, s24
	s_add_u32 s24, s1, s26
	s_addc_u32 s25, s0, s27
	s_mul_i32 s58, s42, s9
	s_mul_i32 s59, s34, s29
	s_lshr_b64 s[26:27], s[24:25], 26
	s_lshl_b64 s[48:49], s[6:7], 10
	s_mul_hi_u32 s6, s42, s9
	s_mul_hi_u32 s60, s34, s29
	s_add_u32 s58, s59, s58
	s_addc_u32 s6, s60, s6
	s_add_u32 s50, s58, s50
	s_addc_u32 s51, s6, s51
	s_mul_i32 s21, s31, s39
	s_mul_i32 s23, s36, s41
	s_mul_hi_u32 s15, s31, s39
	s_mul_hi_u32 s22, s36, s41
	s_and_b32 s6, s50, 0x3ffffff
	s_lshr_b64 s[50:51], s[50:51], 26
	s_mul_i32 s52, s38, s8
	s_add_u32 s21, s23, s21
	s_mul_hi_u32 s25, s38, s8
	s_addc_u32 s15, s22, s15
	s_mul_i32 s54, s40, s44
	s_add_u32 s21, s21, s52
	s_mul_hi_u32 s53, s40, s44
	s_addc_u32 s15, s15, s25
	s_mul_i32 s57, s43, s28
	s_add_u32 s21, s21, s54
	s_mul_hi_u32 s55, s43, s28
	s_addc_u32 s15, s15, s53
	s_mul_i32 s1, s18, s30
	s_add_u32 s21, s21, s57
	s_mul_hi_u32 s0, s18, s30
	s_addc_u32 s15, s15, s55
	s_mul_i32 s3, s19, s35
	s_add_u32 s1, s21, s1
	s_mul_hi_u32 s2, s19, s35
	s_addc_u32 s0, s15, s0
	s_mul_i32 s13, s16, s37
	s_add_u32 s1, s1, s3
	s_mul_hi_u32 s11, s16, s37
	s_addc_u32 s0, s0, s2
	s_add_u32 s1, s1, s13
	s_addc_u32 s0, s0, s11
	s_mul_i32 s59, s6, 0x3d10
	s_add_u32 s1, s1, s48
	s_mul_hi_u32 s58, s6, 0x3d10
	s_addc_u32 s0, s0, s49
	s_add_u32 s1, s1, s59
	s_addc_u32 s0, s0, s58
	s_add_u32 s26, s1, s26
	s_addc_u32 s27, s0, s27
	s_lshl_b64 s[52:53], s[6:7], 10
	s_mul_i32 s6, s34, s9
	s_lshr_b64 s[48:49], s[26:27], 26
	s_mul_hi_u32 s9, s34, s9
	s_mul_hi_u32 s22, s40, s8
	s_mul_i32 s40, s40, s8
	s_add_u32 s8, s50, s6
	s_addc_u32 s9, s51, s9
	s_mul_hi_u32 s11, s16, s35
	s_mul_i32 s13, s16, s35
	s_mul_hi_u32 s15, s31, s37
	s_mul_i32 s31, s31, s37
	;; [unrolled: 2-line block ×5, first 2 shown]
	s_and_b32 s6, s8, 0x3ffffff
	s_lshr_b64 s[18:19], s[8:9], 26
	s_mul_hi_u32 s21, s38, s41
	s_mul_i32 s38, s38, s41
	s_add_u32 s29, s36, s31
	s_addc_u32 s15, s16, s15
	s_add_u32 s16, s29, s38
	s_addc_u32 s15, s15, s21
	s_mul_hi_u32 s23, s43, s44
	s_mul_i32 s43, s43, s44
	s_add_u32 s16, s16, s40
	s_addc_u32 s15, s15, s22
	s_mul_hi_u32 s25, s42, s28
	s_mul_i32 s42, s42, s28
	s_add_u32 s16, s16, s43
	s_addc_u32 s15, s15, s23
	s_add_u32 s16, s16, s42
	s_addc_u32 s15, s15, s25
	;; [unrolled: 2-line block ×5, first 2 shown]
	v_alignbit_b32 v0, s9, s8, 26
	s_mul_i32 s28, s6, 0x3d10
	s_add_u32 s1, s1, s52
	s_mul_hi_u32 s27, s6, 0x3d10
	s_addc_u32 s0, s0, s53
	s_add_u32 s1, s1, s28
	s_addc_u32 s0, s0, s27
	s_add_u32 s8, s1, s48
	v_readfirstlane_b32 s1, v0
	s_addc_u32 s9, s0, s49
	s_lshl_b64 s[30:31], s[6:7], 10
	s_lshr_b64 s[28:29], s[8:9], 26
	s_delay_alu instid0(VALU_DEP_1)
	s_mul_i32 s0, s1, 0x3d10
	s_mul_hi_u32 s1, s1, 0x3d10
	s_add_u32 s0, s0, s17
	s_addc_u32 s1, s1, 0
	s_add_u32 s0, s0, s30
	s_addc_u32 s1, s1, s31
	;; [unrolled: 2-line block ×3, first 2 shown]
	s_lshl_b64 s[18:19], s[18:19], 14
	s_lshr_b64 s[16:17], s[30:31], 22
	s_delay_alu instid0(SALU_CYCLE_1)
	s_add_u32 s16, s16, s18
	s_addc_u32 s17, s17, s19
	s_mul_hi_u32 s1, s16, 0x3d1
	s_mul_i32 s0, s17, 0x3d1
	s_mul_i32 s2, s16, 0x3d1
	s_add_i32 s1, s1, s0
	s_add_u32 s28, s2, s45
	s_addc_u32 s29, s1, 0
	s_lshl_b64 s[16:17], s[16:17], 6
	s_lshr_b64 s[18:19], s[28:29], 26
	s_add_u32 s0, s16, s46
	s_addc_u32 s1, s17, 0
	s_add_u32 s16, s0, s18
	s_addc_u32 s17, s1, s19
	s_delay_alu instid0(SALU_CYCLE_1)
	s_lshr_b64 s[18:19], s[16:17], 26
	s_mov_b32 s19, 44
	s_add_u32 s18, s18, s47
.LBB0_17:                               ; =>This Inner Loop Header: Depth=1
	s_lshl_b32 s0, s28, 1
	s_lshl_b32 s2, s10, 1
	;; [unrolled: 1-line block ×4, first 2 shown]
	s_and_b32 s17, s24, 0x3ffffff
	s_and_b32 s6, s14, 0x3ffffff
	;; [unrolled: 1-line block ×6, first 2 shown]
	s_lshl_b32 s13, s18, 1
	s_and_b32 s11, s26, 0x3ffffff
	s_and_b32 s30, s1, 0x7fffffe
	s_mul_i32 s23, s17, s29
	s_mul_i32 s64, s0, s6
	s_and_b32 s15, s8, 0x3ffffff
	s_mul_hi_u32 s22, s17, s29
	s_mul_hi_u32 s62, s0, s6
	s_mul_i32 s68, s11, s13
	s_mul_hi_u32 s60, s6, s6
	s_mul_i32 s96, s6, s6
	s_mul_hi_u32 s40, s6, s13
	s_mul_i32 s41, s6, s13
	s_mul_hi_u32 s86, s6, s31
	s_mul_i32 s87, s6, s31
	s_mul_hi_u32 s99, s6, s30
	s_mul_i32 s100, s6, s30
	s_mul_hi_u32 s49, s6, s29
	s_mul_i32 s50, s6, s29
	s_add_u32 s6, s23, s64
	s_mul_hi_u32 s63, s11, s13
	s_addc_u32 s22, s22, s62
	s_mul_i32 s21, s15, s30
	s_add_u32 s6, s6, s68
	s_mul_hi_u32 s3, s15, s30
	s_addc_u32 s22, s22, s63
	s_mul_i32 s2, s9, s31
	s_add_u32 s6, s6, s21
	s_mul_hi_u32 s1, s9, s31
	s_addc_u32 s3, s22, s3
	s_add_u32 s62, s6, s2
	s_addc_u32 s63, s3, s1
	s_mul_i32 s72, s17, s0
	s_mul_hi_u32 s71, s17, s0
	s_and_b32 s1, s28, 0x3ffffff
	s_and_b32 s28, s62, 0x3fffffe
	s_lshr_b64 s[62:63], s[62:63], 26
	s_mul_i32 s70, s11, s29
	s_add_u32 s3, s72, s96
	s_mul_hi_u32 s67, s11, s29
	s_addc_u32 s6, s71, s60
	s_mul_i32 s57, s15, s13
	s_add_u32 s3, s3, s70
	s_mul_hi_u32 s54, s15, s13
	s_addc_u32 s6, s6, s67
	;; [unrolled: 4-line block ×3, first 2 shown]
	s_add_u32 s3, s3, s66
	s_addc_u32 s6, s6, s65
	s_add_u32 s62, s3, s62
	s_addc_u32 s63, s6, s63
	s_and_b32 s6, s62, 0x3ffffff
	s_mul_hi_u32 s2, s1, s1
	s_mul_i32 s1, s1, s1
	s_mul_i32 s3, s6, 0x3d10
	s_lshr_b64 s[62:63], s[62:63], 26
	s_mul_hi_u32 s21, s6, 0x3d10
	s_add_u32 s70, s3, s1
	s_addc_u32 s71, s21, s2
	s_lshl_b32 s2, s14, 1
	s_mul_hi_u32 s44, s17, s17
	s_and_b32 s2, s2, 0x7fffffe
	s_mul_i32 s46, s17, s17
	s_mul_hi_u32 s36, s17, s13
	s_mul_i32 s37, s17, s13
	s_mul_i32 s76, s11, s0
	s_mul_hi_u32 s69, s17, s31
	s_mul_i32 s98, s17, s31
	s_mul_hi_u32 s58, s17, s30
	s_mul_i32 s59, s17, s30
	s_lshl_b64 s[96:97], s[6:7], 10
	s_mul_hi_u32 s6, s2, s17
	s_mul_i32 s17, s2, s17
	s_mul_hi_u32 s75, s11, s0
	s_and_b32 s1, s16, 0x3ffffff
	s_and_b32 s16, s70, 0x3fffffd
	s_lshr_b64 s[70:71], s[70:71], 26
	s_mul_i32 s74, s15, s29
	s_add_u32 s17, s76, s17
	s_mul_hi_u32 s73, s15, s29
	s_addc_u32 s6, s75, s6
	s_mul_i32 s52, s9, s13
	s_add_u32 s17, s17, s74
	s_mul_hi_u32 s51, s9, s13
	s_addc_u32 s6, s6, s73
	s_add_u32 s17, s17, s52
	s_addc_u32 s6, s6, s51
	s_add_u32 s62, s17, s62
	s_addc_u32 s63, s6, s63
	s_mul_i32 s14, s31, s1
	s_mul_hi_u32 s3, s31, s1
	s_and_b32 s6, s62, 0x3ffffff
	s_lshr_b64 s[62:63], s[62:63], 26
	s_add_u32 s14, s96, s14
	s_addc_u32 s3, s97, s3
	s_mul_i32 s51, s6, 0x3d10
	s_add_u32 s14, s14, s70
	s_mul_hi_u32 s17, s6, 0x3d10
	s_addc_u32 s3, s3, s71
	s_add_u32 s70, s14, s51
	s_addc_u32 s71, s3, s17
	s_mul_i32 s23, s11, s2
	s_mul_hi_u32 s22, s11, s2
	s_lshl_b64 s[96:97], s[6:7], 10
	s_and_b32 s17, s70, 0x3ffffff
	s_lshr_b64 s[70:71], s[70:71], 26
	s_mul_i32 s82, s15, s0
	s_add_u32 s3, s23, s46
	s_mul_hi_u32 s81, s15, s0
	s_addc_u32 s6, s22, s44
	s_mul_i32 s80, s9, s29
	s_add_u32 s3, s3, s82
	s_mul_hi_u32 s79, s9, s29
	s_addc_u32 s6, s6, s81
	s_add_u32 s3, s3, s80
	s_addc_u32 s6, s6, s79
	s_add_u32 s62, s3, s62
	s_addc_u32 s63, s6, s63
	s_mul_i32 s78, s18, s31
	s_mul_hi_u32 s21, s1, s1
	s_mul_i32 s1, s1, s1
	s_mul_hi_u32 s77, s18, s31
	s_and_b32 s6, s62, 0x3ffffff
	s_lshr_b64 s[62:63], s[62:63], 26
	s_add_u32 s1, s78, s1
	s_addc_u32 s21, s77, s21
	s_mul_i32 s14, s6, 0x3d10
	s_add_u32 s1, s1, s96
	s_mul_hi_u32 s3, s6, 0x3d10
	s_addc_u32 s21, s21, s97
	s_add_u32 s1, s1, s14
	s_addc_u32 s3, s21, s3
	s_add_u32 s70, s1, s70
	s_addc_u32 s71, s3, s71
	s_lshl_b32 s3, s24, 1
	s_mul_i32 s57, s15, s2
	s_and_b32 s3, s3, 0x7fffffe
	s_and_b32 s1, s10, 0x3ffffff
	s_mul_i32 s10, s3, s11
	s_mul_hi_u32 s54, s15, s2
	s_lshl_b64 s[96:97], s[6:7], 10
	s_and_b32 s44, s70, 0x3ffffff
	s_lshr_b64 s[70:71], s[70:71], 26
	s_mul_hi_u32 s6, s3, s11
	s_mul_hi_u32 s85, s9, s0
	s_mul_i32 s0, s9, s0
	s_add_u32 s10, s57, s10
	s_addc_u32 s6, s54, s6
	s_add_u32 s0, s10, s0
	s_addc_u32 s6, s6, s85
	s_add_u32 s10, s0, s62
	s_mul_hi_u32 s34, s11, s11
	s_mul_i32 s35, s11, s11
	s_mul_hi_u32 s53, s11, s31
	s_mul_i32 s55, s11, s31
	s_mul_hi_u32 s47, s11, s30
	s_mul_i32 s48, s11, s30
	s_addc_u32 s11, s6, s63
	s_mul_i32 s84, s30, s18
	s_mul_i32 s21, s1, s31
	s_mul_hi_u32 s83, s30, s18
	s_mul_hi_u32 s14, s1, s31
	s_and_b32 s6, s10, 0x3ffffff
	s_lshr_b64 s[62:63], s[10:11], 26
	s_add_u32 s11, s21, s84
	s_addc_u32 s14, s14, s83
	s_mul_i32 s10, s6, 0x3d10
	s_add_u32 s11, s11, s96
	s_mul_hi_u32 s0, s6, 0x3d10
	s_addc_u32 s14, s14, s97
	s_add_u32 s10, s11, s10
	s_addc_u32 s0, s14, s0
	s_add_u32 s10, s10, s70
	s_addc_u32 s11, s0, s71
	s_mul_i32 s64, s15, s3
	s_mul_hi_u32 s24, s15, s3
	s_lshl_b64 s[70:71], s[6:7], 10
	s_and_b32 s0, s12, 0x3ffffff
	s_lshr_b64 s[96:97], s[10:11], 26
	s_mul_hi_u32 s60, s9, s2
	s_mul_i32 s2, s9, s2
	s_add_u32 s6, s64, s35
	s_addc_u32 s12, s24, s34
	s_add_u32 s2, s6, s2
	s_addc_u32 s6, s12, s60
	s_add_u32 s12, s2, s62
	s_mul_hi_u32 s46, s13, s1
	s_mul_i32 s51, s13, s1
	s_mul_hi_u32 s57, s0, s13
	s_mul_i32 s66, s0, s13
	s_addc_u32 s13, s6, s63
	s_mul_i32 s27, s18, s18
	s_mul_i32 s23, s1, s30
	s_mul_hi_u32 s25, s18, s18
	s_mul_hi_u32 s18, s15, s31
	s_mul_i32 s45, s15, s31
	s_mul_hi_u32 s22, s1, s30
	s_mul_hi_u32 s11, s0, s31
	s_mul_i32 s14, s0, s31
	s_mul_hi_u32 s21, s0, s30
	s_mul_i32 s54, s0, s30
	s_and_b32 s6, s12, 0x3ffffff
	s_lshr_b64 s[30:31], s[12:13], 26
	s_add_u32 s13, s23, s27
	s_addc_u32 s22, s22, s25
	s_add_u32 s13, s13, s14
	s_addc_u32 s11, s22, s11
	s_mul_i32 s12, s6, 0x3d10
	s_add_u32 s13, s13, s70
	s_mul_hi_u32 s2, s6, 0x3d10
	s_addc_u32 s11, s11, s71
	s_add_u32 s12, s13, s12
	s_addc_u32 s2, s11, s2
	s_add_u32 s12, s12, s96
	s_addc_u32 s13, s2, s97
	s_lshl_b32 s2, s26, 1
	s_mul_hi_u32 s65, s9, s3
	s_and_b32 s2, s2, 0x7fffffe
	s_mul_i32 s3, s9, s3
	s_mul_i32 s11, s2, s15
	s_lshl_b64 s[24:25], s[6:7], 10
	s_lshr_b64 s[26:27], s[12:13], 26
	s_mul_hi_u32 s6, s2, s15
	s_add_u32 s3, s3, s11
	s_addc_u32 s6, s65, s6
	s_add_u32 s14, s3, s30
	s_mul_hi_u32 s38, s15, s15
	s_mul_i32 s39, s15, s15
	s_addc_u32 s15, s6, s31
	s_and_b32 s6, s14, 0x3ffffff
	s_lshr_b64 s[30:31], s[14:15], 26
	s_add_u32 s14, s54, s51
	s_addc_u32 s15, s21, s46
	s_add_u32 s14, s14, s87
	s_addc_u32 s15, s15, s86
	s_mul_i32 s11, s6, 0x3d10
	s_add_u32 s14, s14, s24
	s_mul_hi_u32 s3, s6, 0x3d10
	s_addc_u32 s15, s15, s25
	s_add_u32 s11, s14, s11
	s_addc_u32 s3, s15, s3
	s_add_u32 s14, s11, s26
	s_addc_u32 s15, s3, s27
	s_mul_hi_u32 s13, s9, s2
	s_mul_i32 s2, s9, s2
	s_lshl_b64 s[24:25], s[6:7], 10
	s_lshr_b64 s[26:27], s[14:15], 26
	s_add_u32 s2, s2, s39
	s_addc_u32 s3, s13, s38
	s_add_u32 s30, s2, s30
	s_addc_u32 s31, s3, s31
	s_mul_hi_u32 s52, s1, s1
	s_mul_i32 s1, s1, s1
	s_and_b32 s6, s30, 0x3ffffff
	s_lshr_b64 s[30:31], s[30:31], 26
	s_add_u32 s1, s66, s1
	s_addc_u32 s11, s57, s52
	s_add_u32 s1, s1, s100
	s_addc_u32 s11, s11, s99
	;; [unrolled: 2-line block ×3, first 2 shown]
	s_mul_i32 s3, s6, 0x3d10
	s_add_u32 s1, s1, s24
	s_mul_hi_u32 s2, s6, 0x3d10
	s_addc_u32 s11, s11, s25
	s_add_u32 s1, s1, s3
	s_addc_u32 s2, s11, s2
	s_add_u32 s24, s1, s26
	s_addc_u32 s25, s2, s27
	s_lshl_b32 s1, s8, 1
	s_lshl_b64 s[26:27], s[6:7], 10
	s_and_b32 s1, s1, 0x7fffffe
	s_lshr_b64 s[34:35], s[24:25], 26
	s_mul_i32 s2, s1, s9
	s_mul_hi_u32 s1, s1, s9
	s_add_u32 s8, s30, s2
	s_mul_hi_u32 s42, s9, s9
	s_mul_i32 s43, s9, s9
	s_addc_u32 s9, s31, s1
	s_mul_hi_u32 s67, s29, s0
	s_mul_i32 s29, s29, s0
	s_and_b32 s6, s8, 0x3ffffff
	s_lshr_b64 s[8:9], s[8:9], 26
	s_add_u32 s3, s41, s29
	s_addc_u32 s11, s40, s67
	s_add_u32 s3, s3, s59
	s_addc_u32 s11, s11, s58
	;; [unrolled: 2-line block ×3, first 2 shown]
	s_mul_i32 s2, s6, 0x3d10
	s_add_u32 s3, s3, s26
	s_mul_hi_u32 s1, s6, 0x3d10
	s_addc_u32 s11, s11, s27
	s_add_u32 s2, s3, s2
	s_addc_u32 s1, s11, s1
	s_add_u32 s26, s2, s34
	s_addc_u32 s27, s1, s35
	s_lshl_b64 s[30:31], s[6:7], 10
	s_lshr_b64 s[34:35], s[26:27], 26
	s_add_u32 s8, s8, s43
	s_addc_u32 s9, s9, s42
	s_mul_hi_u32 s68, s0, s0
	s_mul_i32 s0, s0, s0
	s_and_b32 s6, s8, 0x3ffffff
	s_lshr_b64 s[38:39], s[8:9], 26
	s_add_u32 s0, s50, s0
	s_addc_u32 s3, s49, s68
	v_alignbit_b32 v0, s9, s8, 26
	s_add_u32 s0, s0, s37
	s_addc_u32 s3, s3, s36
	s_add_u32 s0, s0, s48
	s_addc_u32 s3, s3, s47
	s_add_u32 s0, s0, s45
	v_readfirstlane_b32 s8, v0
	s_addc_u32 s3, s3, s18
	s_mul_i32 s2, s6, 0x3d10
	s_add_u32 s0, s0, s30
	s_mul_hi_u32 s1, s6, 0x3d10
	s_addc_u32 s3, s3, s31
	s_add_u32 s0, s0, s2
	s_addc_u32 s1, s3, s1
	s_mul_hi_u32 s11, s8, 0x3d10
	s_mul_i32 s13, s8, 0x3d10
	s_add_u32 s8, s0, s34
	s_addc_u32 s9, s1, s35
	s_lshl_b64 s[30:31], s[6:7], 10
	s_lshr_b64 s[34:35], s[8:9], 26
	s_add_u32 s0, s13, s28
	s_addc_u32 s1, s11, 0
	s_add_u32 s0, s0, s30
	s_addc_u32 s1, s1, s31
	;; [unrolled: 2-line block ×3, first 2 shown]
	s_lshl_b64 s[28:29], s[38:39], 14
	s_lshr_b64 s[34:35], s[30:31], 22
	s_delay_alu instid0(SALU_CYCLE_1)
	s_add_u32 s34, s34, s28
	s_addc_u32 s35, s35, s29
	s_mul_hi_u32 s0, s34, 0x3d1
	s_mul_i32 s1, s35, 0x3d1
	s_mul_i32 s2, s34, 0x3d1
	s_add_i32 s0, s0, s1
	s_add_u32 s28, s2, s16
	s_addc_u32 s29, s0, 0
	s_lshl_b64 s[34:35], s[34:35], 6
	s_lshr_b64 s[36:37], s[28:29], 26
	s_add_u32 s0, s34, s17
	s_addc_u32 s1, s35, 0
	s_add_u32 s16, s0, s36
	s_addc_u32 s17, s1, s37
	s_add_i32 s19, s19, -1
	s_lshr_b64 s[34:35], s[16:17], 26
	s_delay_alu instid0(SALU_CYCLE_1)
	s_add_u32 s18, s34, s44
	s_cmp_lg_u32 s19, 0
	s_cbranch_scc1 .LBB0_17
; %bb.18:
	s_and_b32 s25, s28, 0x3ffffff
	s_and_b32 s28, s10, 0x3ffffff
	;; [unrolled: 1-line block ×3, first 2 shown]
	s_mul_i32 s10, s28, s90
	s_and_b32 s31, s14, 0x3ffffff
	s_mul_i32 s12, s29, s91
	s_and_b32 s27, s16, 0x3ffffff
	s_mul_hi_u32 s9, s28, s90
	s_mul_hi_u32 s11, s29, s91
	s_and_b32 s24, s24, 0x3ffffff
	s_and_b32 s26, s26, 0x3ffffff
	;; [unrolled: 1-line block ×4, first 2 shown]
	s_mul_i32 s14, s31, s92
	s_add_u32 s10, s12, s10
	s_mul_hi_u32 s13, s31, s92
	s_addc_u32 s9, s11, s9
	s_mul_i32 s16, s24, s93
	s_add_u32 s10, s10, s14
	s_mul_hi_u32 s15, s24, s93
	s_addc_u32 s9, s9, s13
	s_mul_i32 s8, s26, s4
	s_add_u32 s10, s10, s16
	s_mul_hi_u32 s17, s26, s4
	s_addc_u32 s9, s9, s15
	s_mul_i32 s21, s34, s94
	s_add_u32 s8, s10, s8
	s_mul_hi_u32 s19, s34, s94
	s_addc_u32 s9, s9, s17
	s_mul_i32 s23, s30, s95
	s_add_u32 s8, s8, s21
	s_mul_hi_u32 s22, s30, s95
	s_addc_u32 s9, s9, s19
	s_mul_i32 s1, s25, s5
	s_add_u32 s8, s8, s23
	s_mul_hi_u32 s0, s25, s5
	s_addc_u32 s9, s9, s22
	s_mul_i32 s3, s27, s88
	s_add_u32 s1, s8, s1
	s_mul_hi_u32 s2, s27, s88
	s_addc_u32 s0, s9, s0
	s_mul_i32 s7, s18, s89
	s_add_u32 s1, s1, s3
	s_mul_hi_u32 s6, s18, s89
	s_addc_u32 s0, s0, s2
	s_add_u32 s8, s1, s7
	s_addc_u32 s9, s0, s6
	s_mul_i32 s12, s28, s89
	s_mul_i32 s14, s29, s90
	s_and_b32 s19, s8, 0x3ffffff
	s_lshr_b64 s[8:9], s[8:9], 26
	s_mul_hi_u32 s11, s28, s89
	s_mul_hi_u32 s13, s29, s90
	s_mul_i32 s16, s31, s91
	s_add_u32 s12, s14, s12
	s_mul_hi_u32 s15, s31, s91
	s_addc_u32 s11, s13, s11
	s_mul_i32 s21, s24, s92
	s_add_u32 s12, s12, s16
	s_mul_hi_u32 s17, s24, s92
	s_addc_u32 s11, s11, s15
	;; [unrolled: 4-line block ×7, first 2 shown]
	s_add_u32 s3, s3, s10
	s_addc_u32 s2, s2, s6
	s_add_u32 s8, s3, s8
	s_addc_u32 s9, s2, s9
	s_and_b32 s6, s8, 0x3ffffff
	s_mul_i32 s1, s25, s95
	s_mul_i32 s2, s6, 0x3d10
	s_mul_hi_u32 s0, s25, s95
	s_lshr_b64 s[8:9], s[8:9], 26
	s_mul_hi_u32 s3, s6, 0x3d10
	s_add_u32 s10, s2, s1
	s_mov_b32 s7, 0
	s_addc_u32 s11, s3, s0
	s_mul_i32 s16, s28, s88
	s_mul_i32 s21, s29, s89
	s_and_b32 s35, s10, 0x3ffffff
	s_lshr_b64 s[10:11], s[10:11], 26
	s_lshl_b64 s[12:13], s[6:7], 10
	s_mul_hi_u32 s15, s28, s88
	s_mul_hi_u32 s17, s29, s89
	s_mul_i32 s23, s31, s90
	s_add_u32 s16, s21, s16
	s_mul_hi_u32 s22, s31, s90
	s_addc_u32 s15, s17, s15
	s_mul_i32 s37, s24, s91
	s_add_u32 s16, s16, s23
	s_mul_hi_u32 s36, s24, s91
	s_addc_u32 s15, s15, s22
	;; [unrolled: 4-line block ×6, first 2 shown]
	s_add_u32 s14, s16, s14
	s_addc_u32 s6, s15, s6
	s_add_u32 s8, s14, s8
	s_addc_u32 s9, s6, s9
	s_mul_i32 s1, s25, s94
	s_mul_i32 s3, s27, s95
	s_mul_hi_u32 s0, s25, s94
	s_mul_hi_u32 s2, s27, s95
	s_and_b32 s6, s8, 0x3ffffff
	s_lshr_b64 s[8:9], s[8:9], 26
	s_add_u32 s1, s3, s1
	s_addc_u32 s0, s2, s0
	s_add_u32 s1, s1, s12
	s_addc_u32 s0, s0, s13
	s_mul_i32 s15, s6, 0x3d10
	s_add_u32 s1, s1, s10
	s_mul_hi_u32 s14, s6, 0x3d10
	s_addc_u32 s0, s0, s11
	s_add_u32 s10, s1, s15
	s_addc_u32 s11, s0, s14
	s_mul_i32 s16, s28, s5
	s_mul_i32 s21, s29, s88
	s_and_b32 s36, s10, 0x3ffffff
	s_lshr_b64 s[10:11], s[10:11], 26
	s_lshl_b64 s[12:13], s[6:7], 10
	s_mul_hi_u32 s6, s28, s5
	s_mul_hi_u32 s17, s29, s88
	s_mul_i32 s23, s31, s89
	s_add_u32 s16, s21, s16
	s_mul_hi_u32 s22, s31, s89
	s_addc_u32 s6, s17, s6
	s_mul_i32 s38, s24, s90
	s_add_u32 s16, s16, s23
	s_mul_hi_u32 s37, s24, s90
	s_addc_u32 s6, s6, s22
	;; [unrolled: 4-line block ×5, first 2 shown]
	s_add_u32 s16, s16, s44
	s_addc_u32 s6, s6, s43
	s_add_u32 s8, s16, s8
	s_addc_u32 s9, s6, s9
	s_mul_i32 s1, s25, s4
	s_mul_i32 s3, s27, s94
	s_mul_hi_u32 s0, s25, s4
	s_mul_hi_u32 s2, s27, s94
	s_and_b32 s6, s8, 0x3ffffff
	s_lshr_b64 s[8:9], s[8:9], 26
	s_mul_i32 s15, s18, s95
	s_add_u32 s1, s3, s1
	s_mul_hi_u32 s14, s18, s95
	s_addc_u32 s0, s2, s0
	s_add_u32 s1, s1, s15
	s_addc_u32 s0, s0, s14
	s_mul_i32 s17, s6, 0x3d10
	s_add_u32 s1, s1, s12
	s_mul_hi_u32 s16, s6, 0x3d10
	s_addc_u32 s0, s0, s13
	s_add_u32 s1, s1, s17
	s_addc_u32 s0, s0, s16
	s_add_u32 s10, s1, s10
	s_addc_u32 s11, s0, s11
	s_mul_i32 s14, s29, s5
	s_mul_i32 s23, s31, s88
	s_and_b32 s37, s10, 0x3ffffff
	s_lshr_b64 s[10:11], s[10:11], 26
	s_lshl_b64 s[12:13], s[6:7], 10
	s_mul_hi_u32 s6, s29, s5
	s_mul_hi_u32 s15, s31, s88
	s_mul_i32 s39, s24, s89
	s_add_u32 s14, s23, s14
	s_mul_hi_u32 s38, s24, s89
	s_addc_u32 s6, s15, s6
	s_mul_i32 s41, s26, s90
	s_add_u32 s14, s14, s39
	s_mul_hi_u32 s40, s26, s90
	s_addc_u32 s6, s6, s38
	;; [unrolled: 4-line block ×4, first 2 shown]
	s_add_u32 s14, s14, s45
	s_addc_u32 s6, s6, s44
	s_add_u32 s8, s14, s8
	s_addc_u32 s9, s6, s9
	s_mul_i32 s1, s25, s93
	s_mul_i32 s22, s28, s95
	s_mul_hi_u32 s0, s25, s93
	s_mul_hi_u32 s21, s28, s95
	s_and_b32 s6, s8, 0x3ffffff
	s_lshr_b64 s[14:15], s[8:9], 26
	s_mul_i32 s3, s27, s4
	s_add_u32 s1, s1, s22
	s_mul_hi_u32 s2, s27, s4
	s_addc_u32 s0, s0, s21
	s_mul_i32 s17, s18, s94
	s_add_u32 s1, s1, s3
	s_mul_hi_u32 s16, s18, s94
	s_addc_u32 s0, s0, s2
	s_add_u32 s1, s1, s17
	s_addc_u32 s0, s0, s16
	s_mul_i32 s9, s6, 0x3d10
	s_add_u32 s1, s1, s12
	s_mul_hi_u32 s8, s6, 0x3d10
	s_addc_u32 s0, s0, s13
	s_add_u32 s1, s1, s9
	s_addc_u32 s0, s0, s8
	s_add_u32 s8, s1, s10
	s_addc_u32 s9, s0, s11
	s_mul_i32 s38, s31, s5
	s_mul_i32 s40, s24, s88
	s_lshr_b64 s[10:11], s[8:9], 26
	s_lshl_b64 s[12:13], s[6:7], 10
	s_mul_hi_u32 s6, s31, s5
	s_mul_hi_u32 s39, s24, s88
	s_mul_i32 s42, s26, s89
	s_add_u32 s38, s40, s38
	s_mul_hi_u32 s41, s26, s89
	s_addc_u32 s6, s39, s6
	s_mul_i32 s44, s34, s90
	s_add_u32 s38, s38, s42
	s_mul_hi_u32 s43, s34, s90
	s_addc_u32 s6, s6, s41
	;; [unrolled: 4-line block ×3, first 2 shown]
	s_add_u32 s38, s38, s46
	s_addc_u32 s6, s6, s45
	s_add_u32 s14, s38, s14
	s_addc_u32 s15, s6, s15
	s_mul_i32 s21, s28, s94
	s_mul_i32 s23, s29, s95
	s_mul_hi_u32 s17, s28, s94
	s_mul_hi_u32 s22, s29, s95
	s_and_b32 s6, s14, 0x3ffffff
	s_lshr_b64 s[14:15], s[14:15], 26
	s_mul_i32 s1, s25, s92
	s_add_u32 s21, s23, s21
	s_mul_hi_u32 s0, s25, s92
	s_addc_u32 s17, s22, s17
	s_mul_i32 s3, s27, s93
	s_add_u32 s1, s21, s1
	s_mul_hi_u32 s2, s27, s93
	s_addc_u32 s0, s17, s0
	;; [unrolled: 4-line block ×3, first 2 shown]
	s_add_u32 s1, s1, s16
	s_addc_u32 s0, s0, s9
	s_mul_i32 s39, s6, 0x3d10
	s_add_u32 s1, s1, s12
	s_mul_hi_u32 s38, s6, 0x3d10
	s_addc_u32 s0, s0, s13
	s_add_u32 s1, s1, s39
	s_addc_u32 s0, s0, s38
	s_add_u32 s10, s1, s10
	s_addc_u32 s11, s0, s11
	s_mul_i32 s41, s24, s5
	s_mul_i32 s43, s26, s88
	s_lshr_b64 s[12:13], s[10:11], 26
	s_lshl_b64 s[16:17], s[6:7], 10
	s_mul_hi_u32 s6, s24, s5
	s_mul_hi_u32 s42, s26, s88
	s_mul_i32 s45, s34, s89
	s_add_u32 s41, s43, s41
	s_mul_hi_u32 s44, s34, s89
	s_addc_u32 s6, s42, s6
	s_mul_i32 s47, s30, s90
	s_add_u32 s41, s41, s45
	s_mul_hi_u32 s46, s30, s90
	s_addc_u32 s6, s6, s44
	s_add_u32 s41, s41, s47
	s_addc_u32 s6, s6, s46
	s_add_u32 s14, s41, s14
	s_addc_u32 s15, s6, s15
	s_mul_i32 s22, s28, s4
	s_mul_i32 s38, s29, s94
	s_mul_hi_u32 s21, s28, s4
	s_mul_hi_u32 s23, s29, s94
	s_and_b32 s6, s14, 0x3ffffff
	s_lshr_b64 s[14:15], s[14:15], 26
	s_mul_i32 s40, s31, s95
	s_add_u32 s22, s38, s22
	s_mul_hi_u32 s39, s31, s95
	s_addc_u32 s21, s23, s21
	s_mul_i32 s1, s25, s91
	s_add_u32 s22, s22, s40
	s_mul_hi_u32 s0, s25, s91
	s_addc_u32 s21, s21, s39
	;; [unrolled: 4-line block ×4, first 2 shown]
	s_add_u32 s1, s1, s11
	s_addc_u32 s0, s0, s9
	s_mul_i32 s42, s6, 0x3d10
	s_add_u32 s1, s1, s16
	s_mul_hi_u32 s41, s6, 0x3d10
	s_addc_u32 s0, s0, s17
	s_add_u32 s1, s1, s42
	s_addc_u32 s0, s0, s41
	s_add_u32 s12, s1, s12
	s_addc_u32 s13, s0, s13
	s_mul_i32 s40, s26, s5
	s_mul_i32 s46, s34, s88
	s_lshr_b64 s[16:17], s[12:13], 26
	s_lshl_b64 s[38:39], s[6:7], 10
	s_mul_hi_u32 s6, s26, s5
	s_mul_hi_u32 s41, s34, s88
	s_mul_i32 s48, s30, s89
	s_add_u32 s40, s46, s40
	s_mul_hi_u32 s47, s30, s89
	s_addc_u32 s6, s41, s6
	s_add_u32 s40, s40, s48
	s_addc_u32 s6, s6, s47
	s_add_u32 s14, s40, s14
	s_addc_u32 s15, s6, s15
	s_mul_i32 s21, s28, s93
	s_mul_i32 s23, s29, s4
	s_mul_hi_u32 s13, s28, s93
	s_mul_hi_u32 s22, s29, s4
	s_and_b32 s6, s14, 0x3ffffff
	s_lshr_b64 s[40:41], s[14:15], 26
	s_mul_i32 s43, s31, s94
	s_add_u32 s21, s23, s21
	s_mul_hi_u32 s42, s31, s94
	s_addc_u32 s13, s22, s13
	s_mul_i32 s45, s24, s95
	s_add_u32 s21, s21, s43
	s_mul_hi_u32 s44, s24, s95
	s_addc_u32 s13, s13, s42
	;; [unrolled: 4-line block ×5, first 2 shown]
	s_add_u32 s1, s1, s11
	s_addc_u32 s0, s0, s9
	s_mul_i32 s15, s6, 0x3d10
	s_add_u32 s1, s1, s38
	s_mul_hi_u32 s14, s6, 0x3d10
	s_addc_u32 s0, s0, s39
	s_add_u32 s1, s1, s15
	s_addc_u32 s0, s0, s14
	s_add_u32 s14, s1, s16
	s_addc_u32 s15, s0, s17
	s_mul_i32 s47, s34, s5
	s_mul_i32 s48, s30, s88
	s_lshr_b64 s[16:17], s[14:15], 26
	s_lshl_b64 s[38:39], s[6:7], 10
	s_mul_hi_u32 s6, s34, s5
	s_mul_hi_u32 s49, s30, s88
	s_add_u32 s47, s48, s47
	s_addc_u32 s6, s49, s6
	s_add_u32 s40, s47, s40
	s_addc_u32 s41, s6, s41
	s_mul_i32 s15, s28, s92
	s_mul_i32 s22, s29, s93
	s_mul_hi_u32 s13, s28, s92
	s_mul_hi_u32 s21, s29, s93
	s_and_b32 s6, s40, 0x3ffffff
	s_lshr_b64 s[40:41], s[40:41], 26
	s_mul_i32 s42, s31, s4
	s_add_u32 s15, s22, s15
	s_mul_hi_u32 s23, s31, s4
	s_addc_u32 s13, s21, s13
	s_mul_i32 s44, s24, s94
	s_add_u32 s15, s15, s42
	s_mul_hi_u32 s43, s24, s94
	s_addc_u32 s13, s13, s23
	;; [unrolled: 4-line block ×6, first 2 shown]
	s_add_u32 s1, s1, s11
	s_addc_u32 s0, s0, s9
	s_mul_i32 s48, s6, 0x3d10
	s_add_u32 s1, s1, s38
	s_mul_hi_u32 s47, s6, 0x3d10
	s_addc_u32 s0, s0, s39
	s_add_u32 s1, s1, s48
	s_addc_u32 s0, s0, s47
	s_add_u32 s16, s1, s16
	s_addc_u32 s17, s0, s17
	s_mul_hi_u32 s3, s18, s90
	s_lshr_b64 s[38:39], s[16:17], 26
	s_mul_i32 s9, s18, s90
	s_mul_hi_u32 s17, s24, s4
	s_mul_i32 s18, s24, s4
	s_mul_i32 s4, s30, s5
	s_lshl_b64 s[42:43], s[6:7], 10
	s_mul_hi_u32 s5, s30, s5
	s_add_u32 s4, s40, s4
	s_addc_u32 s5, s41, s5
	s_mul_hi_u32 s11, s28, s91
	s_mul_i32 s28, s28, s91
	s_mul_hi_u32 s13, s29, s92
	s_mul_i32 s29, s29, s92
	;; [unrolled: 2-line block ×3, first 2 shown]
	s_and_b32 s6, s4, 0x3ffffff
	s_lshr_b64 s[24:25], s[4:5], 26
	s_mul_hi_u32 s15, s31, s93
	s_mul_i32 s31, s31, s93
	s_add_u32 s28, s29, s28
	s_addc_u32 s11, s13, s11
	s_add_u32 s13, s28, s31
	s_addc_u32 s11, s11, s15
	s_mul_hi_u32 s21, s26, s94
	s_mul_i32 s26, s26, s94
	s_add_u32 s13, s13, s18
	s_addc_u32 s11, s11, s17
	s_mul_hi_u32 s22, s34, s95
	s_mul_i32 s34, s34, s95
	s_add_u32 s13, s13, s26
	s_addc_u32 s11, s11, s21
	s_add_u32 s13, s13, s34
	s_addc_u32 s11, s11, s22
	s_mul_hi_u32 s2, s27, s89
	s_mul_i32 s27, s27, s89
	s_add_u32 s1, s13, s1
	s_addc_u32 s0, s11, s0
	s_add_u32 s1, s1, s27
	s_addc_u32 s0, s0, s2
	;; [unrolled: 2-line block ×3, first 2 shown]
	v_alignbit_b32 v0, s5, s4, 26
	s_mul_i32 s30, s6, 0x3d10
	s_add_u32 s1, s1, s42
	s_mul_hi_u32 s23, s6, 0x3d10
	s_addc_u32 s0, s0, s43
	s_add_u32 s1, s1, s30
	s_addc_u32 s0, s0, s23
	s_add_u32 s4, s1, s38
	v_readfirstlane_b32 s1, v0
	s_addc_u32 s5, s0, s39
	s_lshl_b64 s[28:29], s[6:7], 10
	s_lshr_b64 s[26:27], s[4:5], 26
	v_readlane_b32 s90, v20, 25
	s_mul_i32 s0, s1, 0x3d10
	s_mul_hi_u32 s1, s1, 0x3d10
	s_add_u32 s0, s0, s19
	s_addc_u32 s1, s1, 0
	s_add_u32 s0, s0, s28
	s_addc_u32 s1, s1, s29
	;; [unrolled: 2-line block ×3, first 2 shown]
	s_lshl_b64 s[24:25], s[24:25], 14
	s_lshr_b64 s[18:19], s[28:29], 22
	s_delay_alu instid0(SALU_CYCLE_1)
	s_add_u32 s18, s18, s24
	s_addc_u32 s19, s19, s25
	s_mul_hi_u32 s1, s18, 0x3d1
	s_mul_i32 s0, s19, 0x3d1
	s_mul_i32 s2, s18, 0x3d1
	s_add_i32 s1, s1, s0
	s_add_u32 s26, s2, s35
	s_addc_u32 s27, s1, 0
	s_lshl_b64 s[18:19], s[18:19], 6
	s_lshr_b64 s[24:25], s[26:27], 26
	s_add_u32 s0, s18, s36
	s_addc_u32 s1, s19, 0
	s_add_u32 s24, s0, s24
	s_addc_u32 s25, s1, s25
	s_delay_alu instid0(SALU_CYCLE_1) | instskip(NEXT) | instid1(SALU_CYCLE_1)
	s_lshr_b64 s[18:19], s[24:25], 26
	s_add_u32 s17, s18, s37
	s_mov_b32 s18, 3
.LBB0_19:                               ; =>This Inner Loop Header: Depth=1
	s_lshl_b32 s0, s26, 1
	s_lshl_b32 s2, s8, 1
	;; [unrolled: 1-line block ×4, first 2 shown]
	s_and_b32 s15, s14, 0x3ffffff
	s_and_b32 s6, s12, 0x3ffffff
	;; [unrolled: 1-line block ×6, first 2 shown]
	s_lshl_b32 s11, s17, 1
	s_and_b32 s9, s16, 0x3ffffff
	s_and_b32 s28, s1, 0x7fffffe
	s_mul_i32 s23, s15, s27
	s_mul_i32 s64, s0, s6
	s_and_b32 s13, s4, 0x3ffffff
	s_mul_hi_u32 s22, s15, s27
	s_mul_hi_u32 s62, s0, s6
	s_mul_i32 s63, s9, s11
	s_mul_hi_u32 s58, s6, s6
	s_mul_i32 s59, s6, s6
	s_mul_hi_u32 s38, s6, s11
	s_mul_i32 s39, s6, s11
	s_mul_hi_u32 s85, s6, s29
	s_mul_i32 s86, s6, s29
	s_mul_hi_u32 s88, s6, s28
	s_mul_i32 s89, s6, s28
	s_mul_hi_u32 s48, s6, s27
	s_mul_i32 s49, s6, s27
	s_add_u32 s6, s23, s64
	s_mul_hi_u32 s60, s9, s11
	s_addc_u32 s22, s22, s62
	s_mul_i32 s21, s13, s28
	s_add_u32 s6, s6, s63
	s_mul_hi_u32 s3, s13, s28
	s_addc_u32 s22, s22, s60
	s_mul_i32 s2, s5, s29
	s_add_u32 s6, s6, s21
	s_mul_hi_u32 s1, s5, s29
	s_addc_u32 s3, s22, s3
	s_add_u32 s62, s6, s2
	s_addc_u32 s63, s3, s1
	s_mul_i32 s71, s15, s0
	s_mul_hi_u32 s70, s15, s0
	s_and_b32 s1, s26, 0x3ffffff
	s_and_b32 s26, s62, 0x3fffffe
	s_lshr_b64 s[62:63], s[62:63], 26
	s_mul_i32 s69, s9, s27
	s_add_u32 s3, s71, s59
	s_mul_hi_u32 s67, s9, s27
	s_addc_u32 s6, s70, s58
	s_mul_i32 s54, s13, s11
	s_add_u32 s3, s3, s69
	s_mul_hi_u32 s52, s13, s11
	s_addc_u32 s6, s6, s67
	;; [unrolled: 4-line block ×3, first 2 shown]
	s_add_u32 s3, s3, s66
	s_addc_u32 s6, s6, s65
	s_add_u32 s58, s3, s62
	s_addc_u32 s59, s6, s63
	s_and_b32 s6, s58, 0x3ffffff
	s_mul_hi_u32 s2, s1, s1
	s_mul_i32 s1, s1, s1
	s_mul_i32 s3, s6, 0x3d10
	s_lshr_b64 s[58:59], s[58:59], 26
	s_mul_hi_u32 s21, s6, 0x3d10
	s_add_u32 s62, s3, s1
	s_addc_u32 s63, s21, s2
	s_lshl_b32 s2, s12, 1
	s_mul_hi_u32 s43, s15, s15
	s_and_b32 s2, s2, 0x7fffffe
	s_mul_i32 s45, s15, s15
	s_mul_hi_u32 s34, s15, s11
	s_mul_i32 s35, s15, s11
	s_mul_i32 s75, s9, s0
	s_mul_hi_u32 s68, s15, s29
	s_mul_i32 s87, s15, s29
	s_mul_hi_u32 s55, s15, s28
	s_mul_i32 s57, s15, s28
	s_lshl_b64 s[70:71], s[6:7], 10
	s_mul_hi_u32 s6, s2, s15
	s_mul_i32 s15, s2, s15
	s_mul_hi_u32 s74, s9, s0
	s_and_b32 s1, s24, 0x3ffffff
	s_and_b32 s24, s62, 0x3fffffd
	s_lshr_b64 s[62:63], s[62:63], 26
	s_mul_i32 s73, s13, s27
	s_add_u32 s15, s75, s15
	s_mul_hi_u32 s72, s13, s27
	s_addc_u32 s6, s74, s6
	s_mul_i32 s51, s5, s11
	s_add_u32 s15, s15, s73
	s_mul_hi_u32 s50, s5, s11
	s_addc_u32 s6, s6, s72
	s_add_u32 s15, s15, s51
	s_addc_u32 s6, s6, s50
	s_add_u32 s50, s15, s58
	s_addc_u32 s51, s6, s59
	s_mul_i32 s12, s29, s1
	s_mul_hi_u32 s3, s29, s1
	s_and_b32 s6, s50, 0x3ffffff
	s_lshr_b64 s[58:59], s[50:51], 26
	s_add_u32 s12, s70, s12
	s_addc_u32 s3, s71, s3
	s_mul_i32 s50, s6, 0x3d10
	s_add_u32 s12, s12, s62
	s_mul_hi_u32 s15, s6, 0x3d10
	s_addc_u32 s3, s3, s63
	s_add_u32 s62, s12, s50
	s_addc_u32 s63, s3, s15
	s_mul_i32 s23, s9, s2
	s_mul_hi_u32 s22, s9, s2
	s_lshl_b64 s[70:71], s[6:7], 10
	s_and_b32 s50, s62, 0x3ffffff
	s_lshr_b64 s[62:63], s[62:63], 26
	s_mul_i32 s81, s13, s0
	s_add_u32 s3, s23, s45
	s_mul_hi_u32 s80, s13, s0
	s_addc_u32 s6, s22, s43
	s_mul_i32 s79, s5, s27
	s_add_u32 s3, s3, s81
	s_mul_hi_u32 s78, s5, s27
	s_addc_u32 s6, s6, s80
	s_add_u32 s3, s3, s79
	s_addc_u32 s6, s6, s78
	s_add_u32 s58, s3, s58
	s_addc_u32 s59, s6, s59
	s_mul_i32 s77, s17, s29
	s_mul_hi_u32 s21, s1, s1
	s_mul_i32 s1, s1, s1
	s_mul_hi_u32 s76, s17, s29
	s_and_b32 s6, s58, 0x3ffffff
	s_lshr_b64 s[58:59], s[58:59], 26
	s_add_u32 s1, s77, s1
	s_addc_u32 s15, s76, s21
	s_mul_i32 s12, s6, 0x3d10
	s_add_u32 s1, s1, s70
	s_mul_hi_u32 s3, s6, 0x3d10
	s_addc_u32 s15, s15, s71
	s_add_u32 s1, s1, s12
	s_addc_u32 s3, s15, s3
	s_add_u32 s62, s1, s62
	s_addc_u32 s63, s3, s63
	s_lshl_b32 s3, s14, 1
	s_mul_i32 s54, s13, s2
	s_and_b32 s3, s3, 0x7fffffe
	s_and_b32 s1, s8, 0x3ffffff
	s_mul_i32 s8, s3, s9
	s_mul_hi_u32 s52, s13, s2
	s_lshl_b64 s[70:71], s[6:7], 10
	s_and_b32 s43, s62, 0x3ffffff
	s_lshr_b64 s[14:15], s[62:63], 26
	s_mul_hi_u32 s6, s3, s9
	s_mul_hi_u32 s84, s5, s0
	s_mul_i32 s0, s5, s0
	s_add_u32 s8, s54, s8
	s_addc_u32 s6, s52, s6
	s_add_u32 s0, s8, s0
	s_addc_u32 s6, s6, s84
	s_add_u32 s8, s0, s58
	s_mul_hi_u32 s19, s17, s17
	s_mul_i32 s25, s17, s17
	s_mul_hi_u32 s30, s9, s9
	s_mul_i32 s31, s9, s9
	;; [unrolled: 2-line block ×5, first 2 shown]
	s_addc_u32 s9, s6, s59
	s_mul_i32 s21, s1, s29
	s_mul_hi_u32 s12, s1, s29
	s_and_b32 s6, s8, 0x3ffffff
	s_lshr_b64 s[58:59], s[8:9], 26
	s_add_u32 s9, s21, s83
	s_addc_u32 s12, s12, s82
	s_mul_i32 s8, s6, 0x3d10
	s_add_u32 s9, s9, s70
	s_mul_hi_u32 s0, s6, 0x3d10
	s_addc_u32 s12, s12, s71
	s_add_u32 s8, s9, s8
	s_addc_u32 s0, s12, s0
	s_add_u32 s8, s8, s14
	s_addc_u32 s9, s0, s15
	s_mul_i32 s66, s13, s3
	s_mul_hi_u32 s65, s13, s3
	s_lshl_b64 s[14:15], s[6:7], 10
	s_and_b32 s0, s10, 0x3ffffff
	s_lshr_b64 s[62:63], s[8:9], 26
	s_mul_hi_u32 s60, s5, s2
	s_mul_i32 s2, s5, s2
	s_add_u32 s6, s66, s31
	s_addc_u32 s10, s65, s30
	s_add_u32 s2, s6, s2
	s_addc_u32 s6, s10, s60
	s_add_u32 s10, s2, s58
	s_mul_hi_u32 s45, s11, s1
	s_mul_i32 s51, s11, s1
	s_mul_hi_u32 s54, s0, s11
	s_mul_i32 s69, s0, s11
	s_addc_u32 s11, s6, s59
	s_mul_i32 s23, s1, s28
	s_mul_hi_u32 s41, s13, s29
	s_mul_i32 s44, s13, s29
	s_mul_hi_u32 s22, s1, s28
	s_mul_hi_u32 s9, s0, s29
	s_mul_i32 s12, s0, s29
	s_mul_hi_u32 s21, s0, s28
	s_mul_i32 s52, s0, s28
	s_and_b32 s6, s10, 0x3ffffff
	s_lshr_b64 s[28:29], s[10:11], 26
	s_add_u32 s11, s23, s25
	s_addc_u32 s19, s22, s19
	s_add_u32 s11, s11, s12
	s_addc_u32 s9, s19, s9
	s_mul_i32 s10, s6, 0x3d10
	s_add_u32 s11, s11, s14
	s_mul_hi_u32 s2, s6, 0x3d10
	s_addc_u32 s9, s9, s15
	s_add_u32 s10, s11, s10
	s_addc_u32 s2, s9, s2
	s_add_u32 s10, s10, s62
	s_addc_u32 s11, s2, s63
	s_lshl_b32 s2, s16, 1
	s_mul_hi_u32 s67, s5, s3
	s_and_b32 s2, s2, 0x7fffffe
	s_mul_i32 s3, s5, s3
	s_mul_i32 s9, s2, s13
	s_lshl_b64 s[14:15], s[6:7], 10
	s_lshr_b64 s[30:31], s[10:11], 26
	s_mul_hi_u32 s6, s2, s13
	s_add_u32 s3, s3, s9
	s_addc_u32 s6, s67, s6
	s_add_u32 s12, s3, s28
	s_mul_hi_u32 s36, s13, s13
	s_mul_i32 s37, s13, s13
	s_addc_u32 s13, s6, s29
	s_and_b32 s6, s12, 0x3ffffff
	s_lshr_b64 s[28:29], s[12:13], 26
	s_add_u32 s12, s52, s51
	s_addc_u32 s13, s21, s45
	s_add_u32 s12, s12, s86
	s_addc_u32 s13, s13, s85
	s_mul_i32 s9, s6, 0x3d10
	s_add_u32 s12, s12, s14
	s_mul_hi_u32 s3, s6, 0x3d10
	s_addc_u32 s13, s13, s15
	s_add_u32 s9, s12, s9
	s_addc_u32 s3, s13, s3
	s_add_u32 s12, s9, s30
	s_addc_u32 s13, s3, s31
	s_mul_hi_u32 s11, s5, s2
	s_mul_i32 s2, s5, s2
	s_lshl_b64 s[14:15], s[6:7], 10
	s_lshr_b64 s[30:31], s[12:13], 26
	s_add_u32 s2, s2, s37
	s_addc_u32 s3, s11, s36
	s_add_u32 s28, s2, s28
	s_addc_u32 s29, s3, s29
	s_mul_hi_u32 s64, s1, s1
	s_mul_i32 s1, s1, s1
	s_and_b32 s6, s28, 0x3ffffff
	s_lshr_b64 s[28:29], s[28:29], 26
	s_add_u32 s1, s69, s1
	s_addc_u32 s9, s54, s64
	s_add_u32 s1, s1, s89
	s_addc_u32 s9, s9, s88
	;; [unrolled: 2-line block ×3, first 2 shown]
	s_mul_i32 s3, s6, 0x3d10
	s_add_u32 s1, s1, s14
	s_mul_hi_u32 s2, s6, 0x3d10
	s_addc_u32 s9, s9, s15
	s_add_u32 s1, s1, s3
	s_addc_u32 s2, s9, s2
	s_add_u32 s14, s1, s30
	s_addc_u32 s15, s2, s31
	s_lshl_b32 s1, s4, 1
	s_lshl_b64 s[30:31], s[6:7], 10
	s_and_b32 s1, s1, 0x7fffffe
	s_lshr_b64 s[36:37], s[14:15], 26
	s_mul_i32 s2, s1, s5
	s_mul_hi_u32 s1, s1, s5
	s_add_u32 s4, s28, s2
	s_mul_hi_u32 s40, s5, s5
	s_mul_i32 s42, s5, s5
	s_addc_u32 s5, s29, s1
	s_mul_hi_u32 s70, s27, s0
	s_mul_i32 s27, s27, s0
	s_and_b32 s6, s4, 0x3ffffff
	s_lshr_b64 s[4:5], s[4:5], 26
	s_add_u32 s3, s39, s27
	s_addc_u32 s9, s38, s70
	s_add_u32 s3, s3, s57
	s_addc_u32 s9, s9, s55
	;; [unrolled: 2-line block ×3, first 2 shown]
	s_mul_i32 s2, s6, 0x3d10
	s_add_u32 s3, s3, s30
	s_mul_hi_u32 s1, s6, 0x3d10
	s_addc_u32 s9, s9, s31
	s_add_u32 s2, s3, s2
	s_addc_u32 s1, s9, s1
	s_add_u32 s16, s2, s36
	s_addc_u32 s17, s1, s37
	s_lshl_b64 s[28:29], s[6:7], 10
	s_lshr_b64 s[30:31], s[16:17], 26
	s_add_u32 s4, s4, s42
	s_addc_u32 s5, s5, s40
	s_mul_hi_u32 s71, s0, s0
	s_mul_i32 s0, s0, s0
	s_and_b32 s6, s4, 0x3ffffff
	s_lshr_b64 s[36:37], s[4:5], 26
	s_add_u32 s0, s49, s0
	s_addc_u32 s3, s48, s71
	v_alignbit_b32 v0, s5, s4, 26
	s_add_u32 s0, s0, s35
	s_addc_u32 s3, s3, s34
	s_add_u32 s0, s0, s47
	s_addc_u32 s3, s3, s46
	s_add_u32 s0, s0, s44
	v_readfirstlane_b32 s4, v0
	s_addc_u32 s3, s3, s41
	s_mul_i32 s2, s6, 0x3d10
	s_add_u32 s0, s0, s28
	s_mul_hi_u32 s1, s6, 0x3d10
	s_addc_u32 s3, s3, s29
	s_add_u32 s0, s0, s2
	s_addc_u32 s1, s3, s1
	s_mul_hi_u32 s9, s4, 0x3d10
	s_mul_i32 s11, s4, 0x3d10
	s_add_u32 s4, s0, s30
	s_addc_u32 s5, s1, s31
	s_lshl_b64 s[28:29], s[6:7], 10
	s_lshr_b64 s[30:31], s[4:5], 26
	s_add_u32 s0, s11, s26
	s_addc_u32 s1, s9, 0
	s_add_u32 s0, s0, s28
	s_addc_u32 s1, s1, s29
	;; [unrolled: 2-line block ×3, first 2 shown]
	s_lshl_b64 s[26:27], s[36:37], 14
	s_lshr_b64 s[30:31], s[28:29], 22
	s_delay_alu instid0(SALU_CYCLE_1)
	s_add_u32 s30, s30, s26
	s_addc_u32 s31, s31, s27
	s_mul_hi_u32 s0, s30, 0x3d1
	s_mul_i32 s1, s31, 0x3d1
	s_mul_i32 s2, s30, 0x3d1
	s_add_i32 s0, s0, s1
	s_add_u32 s26, s2, s24
	s_addc_u32 s27, s0, 0
	s_lshl_b64 s[24:25], s[30:31], 6
	s_lshr_b64 s[30:31], s[26:27], 26
	s_add_u32 s0, s24, s50
	s_addc_u32 s1, s25, 0
	s_add_u32 s24, s0, s30
	s_addc_u32 s25, s1, s31
	s_add_i32 s18, s18, -1
	s_lshr_b64 s[30:31], s[24:25], 26
	s_delay_alu instid0(SALU_CYCLE_1)
	s_add_u32 s17, s30, s43
	s_cmp_lg_u32 s18, 0
	s_cbranch_scc1 .LBB0_19
; %bb.20:
	v_readlane_b32 s53, v19, 1
	v_readlane_b32 s54, v19, 0
	s_and_b32 s19, s24, 0x3ffffff
	s_and_b32 s24, s8, 0x3ffffff
	;; [unrolled: 1-line block ×3, first 2 shown]
	v_readlane_b32 s55, v20, 31
	s_and_b32 s18, s26, 0x3ffffff
	s_mul_i32 s8, s24, s56
	s_and_b32 s26, s12, 0x3ffffff
	s_mul_i32 s10, s25, s53
	s_mul_hi_u32 s7, s24, s56
	s_mul_hi_u32 s9, s25, s53
	s_and_b32 s27, s14, 0x3ffffff
	s_and_b32 s29, s16, 0x3ffffff
	v_readlane_b32 s48, v20, 19
	s_and_b32 s30, s4, 0x3ffffff
	s_and_b32 s28, s28, 0x3fffff
	s_mul_i32 s12, s26, s54
	v_readlane_b32 s49, v20, 20
	s_add_u32 s8, s10, s8
	s_mul_hi_u32 s11, s26, s54
	v_readlane_b32 s49, v20, 30
	s_addc_u32 s7, s9, s7
	s_mul_i32 s14, s27, s55
	s_add_u32 s8, s8, s12
	s_mul_hi_u32 s13, s27, s55
	v_readlane_b32 s57, v20, 29
	s_addc_u32 s7, s7, s11
	s_mul_i32 s4, s29, s48
	s_add_u32 s8, s8, s14
	v_readlane_b32 s50, v20, 22
	s_mul_hi_u32 s15, s29, s48
	s_addc_u32 s7, s7, s13
	s_mul_i32 s21, s30, s49
	s_add_u32 s4, s8, s4
	v_readlane_b32 s51, v20, 21
	s_mul_hi_u32 s16, s30, s49
	;; [unrolled: 5-line block ×3, first 2 shown]
	s_addc_u32 s7, s7, s16
	s_mul_i32 s1, s18, s50
	s_add_u32 s4, s4, s23
	s_mul_hi_u32 s0, s18, s50
	s_addc_u32 s7, s7, s22
	s_mul_i32 s3, s19, s51
	s_add_u32 s1, s4, s1
	s_mul_hi_u32 s2, s19, s51
	;; [unrolled: 4-line block ×3, first 2 shown]
	s_addc_u32 s0, s0, s2
	s_add_u32 s6, s1, s6
	s_addc_u32 s7, s0, s5
	s_mul_i32 s10, s24, s52
	s_mul_i32 s12, s25, s56
	s_and_b32 s16, s6, 0x3ffffff
	s_lshr_b64 s[6:7], s[6:7], 26
	s_mul_hi_u32 s9, s24, s52
	s_mul_hi_u32 s11, s25, s56
	s_mul_i32 s14, s26, s53
	s_add_u32 s10, s12, s10
	s_mul_hi_u32 s13, s26, s53
	s_addc_u32 s9, s11, s9
	s_mul_i32 s21, s27, s54
	s_add_u32 s10, s10, s14
	s_mul_hi_u32 s15, s27, s54
	s_addc_u32 s9, s9, s13
	;; [unrolled: 4-line block ×7, first 2 shown]
	s_add_u32 s3, s3, s8
	s_addc_u32 s2, s2, s4
	s_add_u32 s6, s3, s6
	s_addc_u32 s7, s2, s7
	s_and_b32 s4, s6, 0x3ffffff
	s_mul_i32 s1, s18, s57
	s_mul_i32 s2, s4, 0x3d10
	s_mul_hi_u32 s0, s18, s57
	s_lshr_b64 s[6:7], s[6:7], 26
	s_mul_hi_u32 s3, s4, 0x3d10
	s_add_u32 s8, s2, s1
	s_mov_b32 s5, 0
	s_addc_u32 s9, s3, s0
	s_mul_i32 s14, s24, s51
	s_mul_i32 s21, s25, s52
	s_and_b32 s31, s8, 0x3ffffff
	s_lshr_b64 s[8:9], s[8:9], 26
	s_lshl_b64 s[10:11], s[4:5], 10
	s_mul_hi_u32 s13, s24, s51
	s_mul_hi_u32 s15, s25, s52
	s_mul_i32 s23, s26, s56
	s_add_u32 s14, s21, s14
	s_mul_hi_u32 s22, s26, s56
	s_addc_u32 s13, s15, s13
	s_mul_i32 s35, s27, s53
	s_add_u32 s14, s14, s23
	s_mul_hi_u32 s34, s27, s53
	s_addc_u32 s13, s13, s22
	;; [unrolled: 4-line block ×6, first 2 shown]
	s_add_u32 s12, s14, s12
	s_addc_u32 s4, s13, s4
	s_add_u32 s6, s12, s6
	s_addc_u32 s7, s4, s7
	s_mul_i32 s1, s18, s49
	s_mul_i32 s3, s19, s57
	s_mul_hi_u32 s0, s18, s49
	s_mul_hi_u32 s2, s19, s57
	s_and_b32 s4, s6, 0x3ffffff
	s_lshr_b64 s[6:7], s[6:7], 26
	s_add_u32 s1, s3, s1
	s_addc_u32 s0, s2, s0
	s_add_u32 s1, s1, s10
	s_addc_u32 s0, s0, s11
	s_mul_i32 s13, s4, 0x3d10
	s_add_u32 s1, s1, s8
	s_mul_hi_u32 s12, s4, 0x3d10
	s_addc_u32 s0, s0, s9
	s_add_u32 s8, s1, s13
	s_addc_u32 s9, s0, s12
	s_mul_i32 s14, s24, s50
	s_mul_i32 s21, s25, s51
	s_and_b32 s34, s8, 0x3ffffff
	s_lshr_b64 s[8:9], s[8:9], 26
	s_lshl_b64 s[10:11], s[4:5], 10
	s_mul_hi_u32 s4, s24, s50
	s_mul_hi_u32 s15, s25, s51
	s_mul_i32 s23, s26, s52
	s_add_u32 s14, s21, s14
	s_mul_hi_u32 s22, s26, s52
	s_addc_u32 s4, s15, s4
	s_mul_i32 s36, s27, s56
	s_add_u32 s14, s14, s23
	s_mul_hi_u32 s35, s27, s56
	s_addc_u32 s4, s4, s22
	;; [unrolled: 4-line block ×5, first 2 shown]
	s_add_u32 s14, s14, s42
	s_addc_u32 s4, s4, s41
	s_add_u32 s6, s14, s6
	s_addc_u32 s7, s4, s7
	s_mul_i32 s1, s18, s48
	s_mul_i32 s3, s19, s49
	s_mul_hi_u32 s0, s18, s48
	s_mul_hi_u32 s2, s19, s49
	s_and_b32 s4, s6, 0x3ffffff
	s_lshr_b64 s[6:7], s[6:7], 26
	s_mul_i32 s13, s17, s57
	s_add_u32 s1, s3, s1
	s_mul_hi_u32 s12, s17, s57
	s_addc_u32 s0, s2, s0
	s_add_u32 s1, s1, s13
	s_addc_u32 s0, s0, s12
	s_mul_i32 s15, s4, 0x3d10
	s_add_u32 s1, s1, s10
	s_mul_hi_u32 s14, s4, 0x3d10
	s_addc_u32 s0, s0, s11
	s_add_u32 s1, s1, s15
	s_addc_u32 s0, s0, s14
	s_add_u32 s8, s1, s8
	s_addc_u32 s9, s0, s9
	s_mul_i32 s12, s25, s50
	s_mul_i32 s23, s26, s51
	s_and_b32 s35, s8, 0x3ffffff
	s_lshr_b64 s[8:9], s[8:9], 26
	s_lshl_b64 s[10:11], s[4:5], 10
	s_mul_hi_u32 s4, s25, s50
	s_mul_hi_u32 s13, s26, s51
	s_mul_i32 s37, s27, s52
	s_add_u32 s12, s23, s12
	s_mul_hi_u32 s36, s27, s52
	s_addc_u32 s4, s13, s4
	s_mul_i32 s39, s29, s56
	s_add_u32 s12, s12, s37
	s_mul_hi_u32 s38, s29, s56
	s_addc_u32 s4, s4, s36
	;; [unrolled: 4-line block ×4, first 2 shown]
	s_add_u32 s12, s12, s43
	s_addc_u32 s4, s4, s42
	s_add_u32 s6, s12, s6
	s_addc_u32 s7, s4, s7
	s_mul_i32 s1, s18, s55
	s_mul_i32 s22, s24, s57
	s_mul_hi_u32 s0, s18, s55
	s_mul_hi_u32 s21, s24, s57
	s_and_b32 s4, s6, 0x3ffffff
	s_lshr_b64 s[12:13], s[6:7], 26
	s_mul_i32 s3, s19, s48
	s_add_u32 s1, s1, s22
	s_mul_hi_u32 s2, s19, s48
	s_addc_u32 s0, s0, s21
	s_mul_i32 s15, s17, s49
	s_add_u32 s1, s1, s3
	s_mul_hi_u32 s14, s17, s49
	s_addc_u32 s0, s0, s2
	s_add_u32 s1, s1, s15
	s_addc_u32 s0, s0, s14
	s_mul_i32 s7, s4, 0x3d10
	s_add_u32 s1, s1, s10
	s_mul_hi_u32 s6, s4, 0x3d10
	s_addc_u32 s0, s0, s11
	s_add_u32 s1, s1, s7
	s_addc_u32 s0, s0, s6
	s_add_u32 s6, s1, s8
	s_addc_u32 s7, s0, s9
	s_mul_i32 s36, s26, s50
	s_mul_i32 s38, s27, s51
	s_lshr_b64 s[8:9], s[6:7], 26
	s_lshl_b64 s[10:11], s[4:5], 10
	s_mul_hi_u32 s4, s26, s50
	s_mul_hi_u32 s37, s27, s51
	s_mul_i32 s40, s29, s52
	s_add_u32 s36, s38, s36
	s_mul_hi_u32 s39, s29, s52
	s_addc_u32 s4, s37, s4
	s_mul_i32 s42, s30, s56
	s_add_u32 s36, s36, s40
	s_mul_hi_u32 s41, s30, s56
	s_addc_u32 s4, s4, s39
	s_mul_i32 s44, s28, s53
	s_add_u32 s36, s36, s42
	s_mul_hi_u32 s43, s28, s53
	s_addc_u32 s4, s4, s41
	s_add_u32 s36, s36, s44
	s_addc_u32 s4, s4, s43
	s_add_u32 s12, s36, s12
	s_addc_u32 s13, s4, s13
	s_mul_i32 s21, s24, s49
	s_mul_i32 s23, s25, s57
	s_mul_hi_u32 s15, s24, s49
	s_mul_hi_u32 s22, s25, s57
	s_and_b32 s4, s12, 0x3ffffff
	s_lshr_b64 s[12:13], s[12:13], 26
	s_mul_i32 s1, s18, s54
	s_add_u32 s21, s23, s21
	s_mul_hi_u32 s0, s18, s54
	s_addc_u32 s15, s22, s15
	s_mul_i32 s3, s19, s55
	s_add_u32 s1, s21, s1
	s_mul_hi_u32 s2, s19, s55
	s_addc_u32 s0, s15, s0
	;; [unrolled: 4-line block ×3, first 2 shown]
	s_add_u32 s1, s1, s14
	s_addc_u32 s0, s0, s7
	s_mul_i32 s37, s4, 0x3d10
	s_add_u32 s1, s1, s10
	s_mul_hi_u32 s36, s4, 0x3d10
	s_addc_u32 s0, s0, s11
	s_add_u32 s1, s1, s37
	s_addc_u32 s0, s0, s36
	s_add_u32 s8, s1, s8
	s_addc_u32 s9, s0, s9
	s_mul_i32 s39, s27, s50
	s_mul_i32 s41, s29, s51
	s_lshr_b64 s[10:11], s[8:9], 26
	s_lshl_b64 s[14:15], s[4:5], 10
	s_mul_hi_u32 s4, s27, s50
	s_mul_hi_u32 s40, s29, s51
	s_mul_i32 s43, s30, s52
	s_add_u32 s39, s41, s39
	s_mul_hi_u32 s42, s30, s52
	s_addc_u32 s4, s40, s4
	s_mul_i32 s45, s28, s56
	s_add_u32 s39, s39, s43
	s_mul_hi_u32 s44, s28, s56
	s_addc_u32 s4, s4, s42
	s_add_u32 s39, s39, s45
	s_addc_u32 s4, s4, s44
	s_add_u32 s12, s39, s12
	s_addc_u32 s13, s4, s13
	s_mul_i32 s22, s24, s48
	s_mul_i32 s36, s25, s49
	s_mul_hi_u32 s21, s24, s48
	s_mul_hi_u32 s23, s25, s49
	s_and_b32 s4, s12, 0x3ffffff
	s_lshr_b64 s[12:13], s[12:13], 26
	s_mul_i32 s38, s26, s57
	s_add_u32 s22, s36, s22
	s_mul_hi_u32 s37, s26, s57
	s_addc_u32 s21, s23, s21
	s_mul_i32 s1, s18, s53
	s_add_u32 s22, s22, s38
	s_mul_hi_u32 s0, s18, s53
	s_addc_u32 s21, s21, s37
	;; [unrolled: 4-line block ×4, first 2 shown]
	s_add_u32 s1, s1, s9
	s_addc_u32 s0, s0, s7
	s_mul_i32 s40, s4, 0x3d10
	s_add_u32 s1, s1, s14
	s_mul_hi_u32 s39, s4, 0x3d10
	s_addc_u32 s0, s0, s15
	s_add_u32 s1, s1, s40
	s_addc_u32 s0, s0, s39
	s_add_u32 s10, s1, s10
	s_addc_u32 s11, s0, s11
	s_mul_i32 s38, s29, s50
	s_mul_i32 s44, s30, s51
	s_lshr_b64 s[14:15], s[10:11], 26
	s_lshl_b64 s[36:37], s[4:5], 10
	s_mul_hi_u32 s4, s29, s50
	s_mul_hi_u32 s39, s30, s51
	s_mul_i32 s46, s28, s52
	s_add_u32 s38, s44, s38
	s_mul_hi_u32 s45, s28, s52
	s_addc_u32 s4, s39, s4
	s_add_u32 s38, s38, s46
	s_addc_u32 s4, s4, s45
	s_add_u32 s12, s38, s12
	s_addc_u32 s13, s4, s13
	s_mul_i32 s21, s24, s55
	s_mul_i32 s23, s25, s48
	s_mul_hi_u32 s11, s24, s55
	s_mul_hi_u32 s22, s25, s48
	s_and_b32 s4, s12, 0x3ffffff
	s_lshr_b64 s[38:39], s[12:13], 26
	s_mul_i32 s41, s26, s49
	s_add_u32 s21, s23, s21
	s_mul_hi_u32 s40, s26, s49
	s_addc_u32 s11, s22, s11
	s_mul_i32 s43, s27, s57
	s_add_u32 s21, s21, s41
	s_mul_hi_u32 s42, s27, s57
	s_addc_u32 s11, s11, s40
	;; [unrolled: 4-line block ×5, first 2 shown]
	s_add_u32 s1, s1, s9
	s_addc_u32 s0, s0, s7
	s_mul_i32 s13, s4, 0x3d10
	s_add_u32 s1, s1, s36
	s_mul_hi_u32 s12, s4, 0x3d10
	s_addc_u32 s0, s0, s37
	s_add_u32 s1, s1, s13
	s_addc_u32 s0, s0, s12
	s_add_u32 s12, s1, s14
	s_addc_u32 s13, s0, s15
	s_mul_i32 s45, s30, s50
	s_mul_i32 s46, s28, s51
	s_lshr_b64 s[14:15], s[12:13], 26
	s_lshl_b64 s[36:37], s[4:5], 10
	s_mul_hi_u32 s4, s30, s50
	s_mul_hi_u32 s47, s28, s51
	s_add_u32 s45, s46, s45
	s_addc_u32 s4, s47, s4
	s_add_u32 s38, s45, s38
	s_addc_u32 s39, s4, s39
	s_mul_i32 s13, s24, s54
	s_mul_i32 s22, s25, s55
	s_mul_hi_u32 s11, s24, s54
	s_mul_hi_u32 s21, s25, s55
	s_and_b32 s4, s38, 0x3ffffff
	s_lshr_b64 s[38:39], s[38:39], 26
	s_mul_i32 s40, s26, s48
	s_add_u32 s13, s22, s13
	s_mul_hi_u32 s23, s26, s48
	s_addc_u32 s11, s21, s11
	s_mul_i32 s42, s27, s49
	s_add_u32 s13, s13, s40
	s_mul_hi_u32 s41, s27, s49
	s_addc_u32 s11, s11, s23
	;; [unrolled: 4-line block ×6, first 2 shown]
	s_add_u32 s1, s1, s9
	s_addc_u32 s0, s0, s7
	s_mul_i32 s46, s4, 0x3d10
	s_add_u32 s1, s1, s36
	s_mul_hi_u32 s45, s4, 0x3d10
	s_addc_u32 s0, s0, s37
	s_add_u32 s1, s1, s46
	s_addc_u32 s0, s0, s45
	s_add_u32 s14, s1, s14
	s_addc_u32 s15, s0, s15
	s_mul_i32 s0, s28, s50
	s_lshr_b64 s[36:37], s[14:15], 26
	s_lshl_b64 s[40:41], s[4:5], 10
	s_mul_hi_u32 s1, s28, s50
	s_add_u32 s0, s38, s0
	s_addc_u32 s1, s39, s1
	s_mul_hi_u32 s11, s17, s56
	s_mul_i32 s13, s17, s56
	s_mul_hi_u32 s15, s24, s53
	s_mul_i32 s24, s24, s53
	;; [unrolled: 2-line block ×5, first 2 shown]
	s_and_b32 s4, s0, 0x3ffffff
	s_lshr_b64 s[18:19], s[0:1], 26
	s_mul_hi_u32 s21, s26, s55
	s_mul_i32 s26, s26, s55
	s_add_u32 s24, s25, s24
	s_addc_u32 s15, s17, s15
	s_mul_hi_u32 s22, s27, s48
	s_mul_i32 s27, s27, s48
	s_add_u32 s17, s24, s26
	s_addc_u32 s15, s15, s21
	;; [unrolled: 4-line block ×4, first 2 shown]
	s_add_u32 s17, s17, s30
	s_addc_u32 s15, s15, s42
	s_add_u32 s3, s17, s3
	s_addc_u32 s2, s15, s2
	;; [unrolled: 2-line block ×3, first 2 shown]
	v_alignbit_b32 v0, s1, s0, 26
	s_add_u32 s3, s3, s13
	s_addc_u32 s2, s2, s11
	s_mul_i32 s38, s4, 0x3d10
	s_add_u32 s3, s3, s40
	s_mul_hi_u32 s28, s4, 0x3d10
	s_addc_u32 s0, s2, s41
	s_add_u32 s1, s3, s38
	v_readfirstlane_b32 s3, v0
	s_addc_u32 s2, s0, s28
	s_add_u32 s0, s1, s36
	s_addc_u32 s1, s2, s37
	s_lshl_b64 s[26:27], s[4:5], 10
	s_lshr_b64 s[24:25], s[0:1], 26
	s_mul_i32 s1, s3, 0x3d10
	s_mul_hi_u32 s2, s3, 0x3d10
	s_add_u32 s1, s1, s16
	s_addc_u32 s2, s2, 0
	s_add_u32 s1, s1, s26
	s_addc_u32 s2, s2, s27
	;; [unrolled: 2-line block ×3, first 2 shown]
	s_lshl_b64 s[18:19], s[18:19], 14
	s_lshr_b64 s[16:17], s[26:27], 22
	v_readlane_b32 s92, v20, 0
	s_add_u32 s16, s16, s18
	s_addc_u32 s17, s17, s19
	s_mul_hi_u32 s2, s16, 0x3d1
	s_mul_i32 s1, s17, 0x3d1
	s_mul_i32 s3, s16, 0x3d1
	s_add_i32 s2, s2, s1
	s_add_u32 s24, s3, s31
	s_addc_u32 s25, s2, 0
	s_lshl_b64 s[16:17], s[16:17], 6
	s_lshr_b64 s[18:19], s[24:25], 26
	s_add_u32 s1, s16, s34
	s_addc_u32 s2, s17, 0
	s_add_u32 s16, s1, s18
	s_addc_u32 s17, s2, s19
	v_readlane_b32 s94, v20, 2
	v_readlane_b32 s95, v20, 3
	;; [unrolled: 1-line block ×6, first 2 shown]
	s_lshr_b64 s[18:19], s[16:17], 26
	v_readlane_b32 s93, v20, 1
	s_add_u32 s15, s18, s35
	s_mov_b32 s18, 23
.LBB0_21:                               ; =>This Inner Loop Header: Depth=1
	s_lshl_b32 s2, s24, 1
	s_lshl_b32 s21, s6, 1
	;; [unrolled: 1-line block ×4, first 2 shown]
	s_and_b32 s13, s12, 0x3ffffff
	s_and_b32 s4, s10, 0x3ffffff
	;; [unrolled: 1-line block ×6, first 2 shown]
	s_lshl_b32 s9, s15, 1
	s_and_b32 s7, s14, 0x3ffffff
	s_and_b32 s26, s3, 0x7fffffe
	s_mul_i32 s63, s13, s25
	s_mul_i32 s65, s2, s4
	s_and_b32 s11, s0, 0x3ffffff
	s_mul_hi_u32 s62, s13, s25
	s_mul_hi_u32 s64, s2, s4
	s_mul_i32 s59, s7, s9
	s_mul_hi_u32 s55, s4, s4
	s_mul_i32 s57, s4, s4
	;; [unrolled: 2-line block ×6, first 2 shown]
	s_add_u32 s4, s63, s65
	s_mul_hi_u32 s58, s7, s9
	s_addc_u32 s62, s62, s64
	s_mul_i32 s23, s11, s26
	s_add_u32 s4, s4, s59
	s_mul_hi_u32 s22, s11, s26
	s_addc_u32 s58, s62, s58
	s_mul_i32 s21, s1, s27
	s_add_u32 s4, s4, s23
	s_mul_hi_u32 s3, s1, s27
	s_addc_u32 s22, s58, s22
	s_add_u32 s58, s4, s21
	s_addc_u32 s59, s22, s3
	s_mul_i32 s71, s13, s2
	s_mul_hi_u32 s70, s13, s2
	s_and_b32 s3, s24, 0x3ffffff
	s_and_b32 s24, s58, 0x3fffffe
	s_lshr_b64 s[58:59], s[58:59], 26
	s_mul_i32 s69, s7, s25
	s_add_u32 s4, s71, s57
	s_mul_hi_u32 s68, s7, s25
	s_addc_u32 s22, s70, s55
	s_mul_i32 s52, s11, s9
	s_add_u32 s4, s4, s69
	s_mul_hi_u32 s50, s11, s9
	s_addc_u32 s22, s22, s68
	;; [unrolled: 4-line block ×3, first 2 shown]
	s_add_u32 s4, s4, s67
	s_addc_u32 s22, s22, s66
	s_add_u32 s58, s4, s58
	s_addc_u32 s59, s22, s59
	s_and_b32 s4, s58, 0x3ffffff
	s_mul_hi_u32 s21, s3, s3
	s_mul_i32 s3, s3, s3
	s_mul_i32 s22, s4, 0x3d10
	s_lshr_b64 s[58:59], s[58:59], 26
	s_mul_hi_u32 s23, s4, 0x3d10
	s_add_u32 s62, s22, s3
	s_addc_u32 s63, s23, s21
	s_lshl_b64 s[68:69], s[4:5], 10
	s_lshl_b32 s4, s10, 1
	s_mul_hi_u32 s41, s13, s13
	s_and_b32 s4, s4, 0x7fffffe
	s_mul_i32 s43, s13, s13
	s_mul_hi_u32 s30, s13, s9
	s_mul_i32 s31, s13, s9
	s_mul_i32 s75, s7, s2
	s_mul_hi_u32 s60, s13, s27
	s_mul_i32 s87, s13, s27
	s_mul_hi_u32 s53, s13, s26
	;; [unrolled: 2-line block ×4, first 2 shown]
	s_and_b32 s3, s16, 0x3ffffff
	s_and_b32 s16, s62, 0x3fffffd
	s_lshr_b64 s[62:63], s[62:63], 26
	s_mul_i32 s73, s11, s25
	s_mul_hi_u32 s50, s7, s4
	s_mul_i32 s52, s7, s4
	s_mul_hi_u32 s55, s11, s4
	;; [unrolled: 2-line block ×3, first 2 shown]
	s_mul_i32 s65, s1, s4
	s_add_u32 s4, s75, s13
	s_mul_hi_u32 s72, s11, s25
	s_addc_u32 s13, s74, s23
	s_mul_i32 s49, s1, s9
	s_add_u32 s4, s4, s73
	s_mul_hi_u32 s48, s1, s9
	s_addc_u32 s13, s13, s72
	s_add_u32 s4, s4, s49
	s_addc_u32 s13, s13, s48
	s_add_u32 s48, s4, s58
	s_addc_u32 s49, s13, s59
	s_mul_i32 s21, s27, s3
	s_mul_hi_u32 s10, s27, s3
	s_and_b32 s4, s48, 0x3ffffff
	s_lshr_b64 s[58:59], s[48:49], 26
	s_add_u32 s21, s68, s21
	s_addc_u32 s10, s69, s10
	s_mul_i32 s23, s4, 0x3d10
	s_add_u32 s21, s21, s62
	s_mul_hi_u32 s13, s4, 0x3d10
	s_addc_u32 s10, s10, s63
	s_add_u32 s62, s21, s23
	s_addc_u32 s63, s10, s13
	s_lshl_b64 s[68:69], s[4:5], 10
	s_and_b32 s48, s62, 0x3ffffff
	s_lshr_b64 s[62:63], s[62:63], 26
	s_mul_i32 s81, s11, s2
	s_add_u32 s4, s52, s43
	s_mul_hi_u32 s80, s11, s2
	s_addc_u32 s10, s50, s41
	s_mul_i32 s79, s1, s25
	s_add_u32 s4, s4, s81
	s_mul_hi_u32 s78, s1, s25
	s_addc_u32 s10, s10, s80
	s_add_u32 s4, s4, s79
	s_addc_u32 s10, s10, s78
	s_add_u32 s58, s4, s58
	s_addc_u32 s59, s10, s59
	s_mul_i32 s77, s15, s27
	s_mul_hi_u32 s22, s3, s3
	s_mul_i32 s3, s3, s3
	s_mul_hi_u32 s76, s15, s27
	s_and_b32 s4, s58, 0x3ffffff
	s_lshr_b64 s[58:59], s[58:59], 26
	s_add_u32 s3, s77, s3
	s_addc_u32 s21, s76, s22
	s_mul_i32 s13, s4, 0x3d10
	s_add_u32 s3, s3, s68
	s_mul_hi_u32 s10, s4, 0x3d10
	s_addc_u32 s21, s21, s69
	s_add_u32 s3, s3, s13
	s_addc_u32 s10, s21, s10
	s_add_u32 s62, s3, s62
	s_addc_u32 s63, s10, s63
	s_lshl_b64 s[68:69], s[4:5], 10
	s_lshl_b32 s4, s12, 1
	s_mul_hi_u32 s17, s15, s15
	s_and_b32 s4, s4, 0x7fffffe
	s_mul_i32 s19, s15, s15
	s_mul_hi_u32 s28, s7, s7
	s_mul_i32 s29, s7, s7
	s_mul_hi_u32 s82, s26, s15
	s_mul_i32 s83, s26, s15
	s_mul_hi_u32 s15, s7, s27
	s_mul_i32 s51, s7, s27
	s_mul_hi_u32 s44, s7, s26
	s_mul_i32 s45, s7, s26
	s_and_b32 s3, s6, 0x3ffffff
	s_mul_hi_u32 s6, s4, s7
	s_mul_i32 s7, s4, s7
	s_and_b32 s41, s62, 0x3ffffff
	s_lshr_b64 s[12:13], s[62:63], 26
	s_mul_hi_u32 s84, s1, s2
	s_mul_i32 s2, s1, s2
	s_mul_hi_u32 s52, s11, s4
	s_mul_i32 s66, s11, s4
	;; [unrolled: 2-line block ×3, first 2 shown]
	s_add_u32 s4, s57, s7
	s_addc_u32 s6, s55, s6
	s_add_u32 s2, s4, s2
	s_addc_u32 s4, s6, s84
	;; [unrolled: 2-line block ×3, first 2 shown]
	s_mul_i32 s21, s3, s27
	s_mul_hi_u32 s10, s3, s27
	s_and_b32 s4, s6, 0x3ffffff
	s_lshr_b64 s[58:59], s[6:7], 26
	s_add_u32 s7, s21, s83
	s_addc_u32 s10, s10, s82
	s_mul_i32 s6, s4, 0x3d10
	s_add_u32 s7, s7, s68
	s_mul_hi_u32 s2, s4, 0x3d10
	s_addc_u32 s10, s10, s69
	s_add_u32 s6, s7, s6
	s_addc_u32 s2, s10, s2
	s_add_u32 s6, s6, s12
	s_addc_u32 s7, s2, s13
	s_lshl_b64 s[12:13], s[4:5], 10
	s_and_b32 s2, s8, 0x3ffffff
	s_lshr_b64 s[62:63], s[6:7], 26
	s_add_u32 s4, s66, s29
	s_addc_u32 s8, s52, s28
	s_add_u32 s4, s4, s65
	s_mul_hi_u32 s43, s9, s3
	s_mul_i32 s49, s9, s3
	s_mul_hi_u32 s57, s2, s9
	s_mul_i32 s68, s2, s9
	s_addc_u32 s9, s8, s64
	s_add_u32 s8, s4, s58
	s_addc_u32 s9, s9, s59
	s_mul_i32 s23, s3, s26
	s_mul_hi_u32 s39, s11, s27
	s_mul_i32 s42, s11, s27
	s_mul_hi_u32 s22, s3, s26
	s_mul_hi_u32 s7, s2, s27
	s_mul_i32 s10, s2, s27
	s_mul_hi_u32 s21, s2, s26
	s_mul_i32 s55, s2, s26
	s_and_b32 s4, s8, 0x3ffffff
	s_lshr_b64 s[26:27], s[8:9], 26
	s_add_u32 s19, s23, s19
	s_addc_u32 s17, s22, s17
	s_add_u32 s10, s19, s10
	s_addc_u32 s7, s17, s7
	s_mul_i32 s9, s4, 0x3d10
	s_add_u32 s10, s10, s12
	s_mul_hi_u32 s8, s4, 0x3d10
	s_addc_u32 s7, s7, s13
	s_add_u32 s9, s10, s9
	s_addc_u32 s7, s7, s8
	s_add_u32 s8, s9, s62
	s_addc_u32 s9, s7, s63
	s_lshl_b32 s7, s14, 1
	s_lshl_b64 s[12:13], s[4:5], 10
	s_and_b32 s4, s7, 0x7fffffe
	s_lshr_b64 s[28:29], s[8:9], 26
	s_mul_i32 s9, s4, s11
	s_mul_hi_u32 s7, s4, s11
	s_mul_hi_u32 s14, s1, s4
	s_mul_i32 s17, s1, s4
	s_add_u32 s4, s70, s9
	s_addc_u32 s7, s67, s7
	s_add_u32 s10, s4, s26
	s_mul_hi_u32 s34, s11, s11
	s_mul_i32 s35, s11, s11
	s_addc_u32 s11, s7, s27
	s_and_b32 s4, s10, 0x3ffffff
	s_lshr_b64 s[26:27], s[10:11], 26
	s_add_u32 s10, s55, s49
	s_addc_u32 s11, s21, s43
	s_add_u32 s10, s10, s86
	s_addc_u32 s11, s11, s85
	s_mul_i32 s9, s4, 0x3d10
	s_add_u32 s10, s10, s12
	s_mul_hi_u32 s7, s4, 0x3d10
	s_addc_u32 s11, s11, s13
	s_add_u32 s9, s10, s9
	s_addc_u32 s7, s11, s7
	s_add_u32 s10, s9, s28
	s_addc_u32 s11, s7, s29
	s_lshl_b64 s[12:13], s[4:5], 10
	s_lshr_b64 s[28:29], s[10:11], 26
	s_add_u32 s4, s17, s35
	s_addc_u32 s7, s14, s34
	s_add_u32 s26, s4, s26
	s_addc_u32 s27, s7, s27
	s_mul_hi_u32 s50, s3, s3
	s_mul_i32 s3, s3, s3
	s_and_b32 s4, s26, 0x3ffffff
	s_lshr_b64 s[26:27], s[26:27], 26
	s_add_u32 s3, s68, s3
	s_addc_u32 s11, s57, s50
	s_add_u32 s3, s3, s89
	s_addc_u32 s11, s11, s88
	;; [unrolled: 2-line block ×3, first 2 shown]
	s_mul_i32 s9, s4, 0x3d10
	s_add_u32 s3, s3, s12
	s_mul_hi_u32 s7, s4, 0x3d10
	s_addc_u32 s11, s11, s13
	s_add_u32 s3, s3, s9
	s_addc_u32 s7, s11, s7
	s_add_u32 s12, s3, s28
	s_addc_u32 s13, s7, s29
	s_lshl_b32 s0, s0, 1
	s_mul_hi_u32 s38, s1, s1
	s_and_b32 s0, s0, 0x7fffffe
	s_mul_i32 s40, s1, s1
	s_mul_i32 s3, s0, s1
	s_lshl_b64 s[28:29], s[4:5], 10
	s_lshr_b64 s[34:35], s[12:13], 26
	s_mul_hi_u32 s1, s0, s1
	s_add_u32 s0, s26, s3
	s_addc_u32 s1, s27, s1
	s_mul_hi_u32 s69, s25, s2
	s_mul_i32 s25, s25, s2
	s_and_b32 s4, s0, 0x3ffffff
	s_lshr_b64 s[0:1], s[0:1], 26
	s_add_u32 s9, s37, s25
	s_addc_u32 s11, s36, s69
	s_add_u32 s9, s9, s54
	s_addc_u32 s11, s11, s53
	;; [unrolled: 2-line block ×3, first 2 shown]
	s_mul_i32 s7, s4, 0x3d10
	s_add_u32 s9, s9, s28
	s_mul_hi_u32 s3, s4, 0x3d10
	s_addc_u32 s11, s11, s29
	s_add_u32 s7, s9, s7
	s_addc_u32 s3, s11, s3
	s_add_u32 s14, s7, s34
	s_addc_u32 s15, s3, s35
	s_lshl_b64 s[26:27], s[4:5], 10
	s_lshr_b64 s[28:29], s[14:15], 26
	s_add_u32 s0, s0, s40
	s_addc_u32 s1, s1, s38
	s_mul_hi_u32 s71, s2, s2
	s_mul_i32 s2, s2, s2
	s_and_b32 s4, s0, 0x3ffffff
	s_lshr_b64 s[34:35], s[0:1], 26
	s_add_u32 s2, s47, s2
	s_addc_u32 s3, s46, s71
	s_add_u32 s2, s2, s31
	s_addc_u32 s3, s3, s30
	v_alignbit_b32 v0, s1, s0, 26
	s_add_u32 s2, s2, s45
	s_addc_u32 s3, s3, s44
	s_add_u32 s2, s2, s42
	s_addc_u32 s3, s3, s39
	s_mul_i32 s1, s4, 0x3d10
	s_add_u32 s2, s2, s26
	s_mul_hi_u32 s0, s4, 0x3d10
	v_readfirstlane_b32 s7, v0
	s_addc_u32 s3, s3, s27
	s_add_u32 s1, s2, s1
	s_addc_u32 s2, s3, s0
	s_add_u32 s0, s1, s28
	s_addc_u32 s1, s2, s29
	s_mul_hi_u32 s9, s7, 0x3d10
	s_mulk_i32 s7, 0x3d10
	s_lshl_b64 s[26:27], s[4:5], 10
	s_lshr_b64 s[28:29], s[0:1], 26
	s_add_u32 s1, s7, s24
	s_addc_u32 s2, s9, 0
	s_add_u32 s1, s1, s26
	s_addc_u32 s2, s2, s27
	;; [unrolled: 2-line block ×3, first 2 shown]
	s_lshl_b64 s[24:25], s[34:35], 14
	s_lshr_b64 s[28:29], s[26:27], 22
	s_delay_alu instid0(SALU_CYCLE_1)
	s_add_u32 s28, s28, s24
	s_addc_u32 s29, s29, s25
	s_mul_hi_u32 s1, s28, 0x3d1
	s_mul_i32 s2, s29, 0x3d1
	s_mul_i32 s3, s28, 0x3d1
	s_add_i32 s1, s1, s2
	s_add_u32 s24, s3, s16
	s_addc_u32 s25, s1, 0
	s_lshl_b64 s[16:17], s[28:29], 6
	s_lshr_b64 s[28:29], s[24:25], 26
	s_add_u32 s1, s16, s48
	s_addc_u32 s2, s17, 0
	s_add_u32 s16, s1, s28
	s_addc_u32 s17, s2, s29
	s_add_i32 s18, s18, -1
	s_lshr_b64 s[28:29], s[16:17], 26
	s_delay_alu instid0(SALU_CYCLE_1)
	s_add_u32 s15, s28, s41
	s_cmp_lg_u32 s18, 0
	s_cbranch_scc1 .LBB0_21
; %bb.22:
	v_readlane_b32 s53, v19, 4
	v_readlane_b32 s54, v19, 5
	;; [unrolled: 1-line block ×3, first 2 shown]
	s_and_b32 s18, s6, 0x3ffffff
	s_and_b32 s19, s8, 0x3ffffff
	v_readlane_b32 s56, v19, 7
	s_and_b32 s17, s24, 0x3ffffff
	s_mul_i32 s8, s18, s53
	s_and_b32 s24, s10, 0x3ffffff
	s_mul_i32 s10, s19, s54
	s_and_b32 s16, s16, 0x3ffffff
	s_mul_hi_u32 s7, s18, s53
	s_mul_hi_u32 s9, s19, s54
	s_and_b32 s25, s12, 0x3ffffff
	s_and_b32 s27, s14, 0x3ffffff
	v_readlane_b32 s48, v19, 8
	s_and_b32 s28, s0, 0x3ffffff
	s_and_b32 s26, s26, 0x3fffff
	s_mul_i32 s12, s24, s55
	v_readlane_b32 s49, v19, 9
	s_add_u32 s8, s10, s8
	s_mul_hi_u32 s11, s24, s55
	v_readlane_b32 s49, v19, 10
	s_addc_u32 s7, s9, s7
	s_mul_i32 s14, s25, s56
	s_add_u32 s8, s8, s12
	s_mul_hi_u32 s13, s25, s56
	v_readlane_b32 s57, v19, 11
	s_addc_u32 s7, s7, s11
	s_mul_i32 s0, s27, s48
	s_add_u32 s8, s8, s14
	v_readlane_b32 s50, v19, 12
	s_mul_hi_u32 s21, s27, s48
	s_addc_u32 s7, s7, s13
	s_mul_i32 s23, s28, s49
	s_add_u32 s0, s8, s0
	v_readlane_b32 s51, v19, 2
	s_mul_hi_u32 s22, s28, s49
	;; [unrolled: 5-line block ×3, first 2 shown]
	s_addc_u32 s7, s7, s22
	s_mul_i32 s2, s17, s50
	s_add_u32 s0, s0, s30
	s_mul_hi_u32 s1, s17, s50
	s_addc_u32 s7, s7, s29
	s_mul_i32 s4, s16, s51
	s_add_u32 s0, s0, s2
	s_mul_hi_u32 s3, s16, s51
	;; [unrolled: 4-line block ×3, first 2 shown]
	s_addc_u32 s1, s1, s3
	s_add_u32 s4, s0, s6
	s_addc_u32 s5, s1, s5
	s_mul_i32 s10, s18, s52
	s_mul_i32 s12, s19, s53
	s_and_b32 s14, s4, 0x3ffffff
	s_lshr_b64 s[4:5], s[4:5], 26
	s_mul_hi_u32 s9, s18, s52
	s_mul_hi_u32 s11, s19, s53
	s_mul_i32 s21, s24, s54
	s_add_u32 s10, s12, s10
	s_mul_hi_u32 s13, s24, s54
	s_addc_u32 s9, s11, s9
	s_mul_i32 s23, s25, s55
	s_add_u32 s10, s10, s21
	s_mul_hi_u32 s22, s25, s55
	s_addc_u32 s9, s9, s13
	;; [unrolled: 4-line block ×7, first 2 shown]
	s_add_u32 s6, s6, s8
	s_addc_u32 s0, s0, s7
	s_add_u32 s4, s6, s4
	s_addc_u32 s5, s0, s5
	s_and_b32 s0, s4, 0x3ffffff
	s_mul_i32 s3, s17, s57
	s_mul_i32 s6, s0, 0x3d10
	s_mul_hi_u32 s2, s17, s57
	s_lshr_b64 s[4:5], s[4:5], 26
	s_mul_hi_u32 s7, s0, 0x3d10
	s_add_u32 s6, s6, s3
	s_mov_b32 s1, 0
	s_addc_u32 s7, s7, s2
	s_mul_i32 s21, s18, s51
	s_mul_i32 s23, s19, s52
	s_and_b32 s29, s6, 0x3ffffff
	s_lshr_b64 s[6:7], s[6:7], 26
	s_lshl_b64 s[8:9], s[0:1], 10
	s_mul_hi_u32 s13, s18, s51
	s_mul_hi_u32 s22, s19, s52
	s_mul_i32 s31, s24, s53
	s_add_u32 s21, s23, s21
	s_mul_hi_u32 s30, s24, s53
	s_addc_u32 s13, s22, s13
	s_mul_i32 s35, s25, s54
	s_add_u32 s21, s21, s31
	s_mul_hi_u32 s34, s25, s54
	s_addc_u32 s13, s13, s30
	;; [unrolled: 4-line block ×6, first 2 shown]
	s_add_u32 s12, s21, s12
	s_addc_u32 s0, s13, s0
	s_add_u32 s4, s12, s4
	s_addc_u32 s5, s0, s5
	s_mul_i32 s3, s17, s49
	s_mul_i32 s11, s16, s57
	s_mul_hi_u32 s2, s17, s49
	s_mul_hi_u32 s10, s16, s57
	s_and_b32 s0, s4, 0x3ffffff
	s_lshr_b64 s[4:5], s[4:5], 26
	s_add_u32 s3, s11, s3
	s_addc_u32 s2, s10, s2
	s_add_u32 s3, s3, s8
	s_addc_u32 s2, s2, s9
	s_mul_i32 s13, s0, 0x3d10
	s_add_u32 s3, s3, s6
	s_mul_hi_u32 s12, s0, 0x3d10
	s_addc_u32 s2, s2, s7
	s_add_u32 s6, s3, s13
	s_addc_u32 s7, s2, s12
	s_mul_i32 s21, s18, s50
	s_mul_i32 s23, s19, s51
	s_and_b32 s30, s6, 0x3ffffff
	s_lshr_b64 s[6:7], s[6:7], 26
	s_lshl_b64 s[8:9], s[0:1], 10
	s_mul_hi_u32 s0, s18, s50
	s_mul_hi_u32 s22, s19, s51
	s_mul_i32 s34, s24, s52
	s_add_u32 s21, s23, s21
	s_mul_hi_u32 s31, s24, s52
	s_addc_u32 s0, s22, s0
	s_mul_i32 s36, s25, s53
	s_add_u32 s21, s21, s34
	s_mul_hi_u32 s35, s25, s53
	s_addc_u32 s0, s0, s31
	;; [unrolled: 4-line block ×5, first 2 shown]
	s_add_u32 s21, s21, s42
	s_addc_u32 s0, s0, s41
	s_add_u32 s4, s21, s4
	s_addc_u32 s5, s0, s5
	s_mul_i32 s3, s17, s48
	s_mul_i32 s11, s16, s49
	s_mul_hi_u32 s2, s17, s48
	s_mul_hi_u32 s10, s16, s49
	s_and_b32 s0, s4, 0x3ffffff
	s_lshr_b64 s[4:5], s[4:5], 26
	s_mul_i32 s13, s15, s57
	s_add_u32 s3, s11, s3
	s_mul_hi_u32 s12, s15, s57
	s_addc_u32 s2, s10, s2
	s_add_u32 s3, s3, s13
	s_addc_u32 s2, s2, s12
	s_mul_i32 s22, s0, 0x3d10
	s_add_u32 s3, s3, s8
	s_mul_hi_u32 s21, s0, 0x3d10
	s_addc_u32 s2, s2, s9
	s_add_u32 s3, s3, s22
	s_addc_u32 s2, s2, s21
	s_add_u32 s6, s3, s6
	s_addc_u32 s7, s2, s7
	s_mul_i32 s10, s19, s50
	s_mul_i32 s35, s24, s51
	s_and_b32 s31, s6, 0x3ffffff
	s_lshr_b64 s[6:7], s[6:7], 26
	s_lshl_b64 s[8:9], s[0:1], 10
	s_mul_hi_u32 s0, s19, s50
	s_mul_hi_u32 s11, s24, s51
	s_mul_i32 s37, s25, s52
	s_add_u32 s10, s35, s10
	s_mul_hi_u32 s36, s25, s52
	s_addc_u32 s0, s11, s0
	s_mul_i32 s39, s27, s53
	s_add_u32 s10, s10, s37
	s_mul_hi_u32 s38, s27, s53
	s_addc_u32 s0, s0, s36
	;; [unrolled: 4-line block ×4, first 2 shown]
	s_add_u32 s10, s10, s43
	s_addc_u32 s0, s0, s42
	s_add_u32 s4, s10, s4
	s_addc_u32 s5, s0, s5
	s_mul_i32 s3, s17, s56
	s_mul_i32 s34, s18, s57
	s_mul_hi_u32 s2, s17, s56
	s_mul_hi_u32 s23, s18, s57
	s_and_b32 s0, s4, 0x3ffffff
	s_lshr_b64 s[10:11], s[4:5], 26
	s_mul_i32 s13, s16, s48
	s_add_u32 s3, s3, s34
	s_mul_hi_u32 s12, s16, s48
	s_addc_u32 s2, s2, s23
	s_mul_i32 s22, s15, s49
	s_add_u32 s3, s3, s13
	s_mul_hi_u32 s21, s15, s49
	s_addc_u32 s2, s2, s12
	s_add_u32 s3, s3, s22
	s_addc_u32 s2, s2, s21
	s_mul_i32 s5, s0, 0x3d10
	s_add_u32 s3, s3, s8
	s_mul_hi_u32 s4, s0, 0x3d10
	s_addc_u32 s2, s2, s9
	s_add_u32 s3, s3, s5
	s_addc_u32 s2, s2, s4
	s_add_u32 s4, s3, s6
	s_addc_u32 s5, s2, s7
	s_mul_i32 s36, s24, s50
	s_mul_i32 s38, s25, s51
	s_lshr_b64 s[6:7], s[4:5], 26
	s_lshl_b64 s[8:9], s[0:1], 10
	s_mul_hi_u32 s0, s24, s50
	s_mul_hi_u32 s37, s25, s51
	s_mul_i32 s40, s27, s52
	s_add_u32 s36, s38, s36
	s_mul_hi_u32 s39, s27, s52
	s_addc_u32 s0, s37, s0
	s_mul_i32 s42, s28, s53
	s_add_u32 s36, s36, s40
	s_mul_hi_u32 s41, s28, s53
	s_addc_u32 s0, s0, s39
	;; [unrolled: 4-line block ×3, first 2 shown]
	s_add_u32 s36, s36, s44
	s_addc_u32 s0, s0, s43
	s_add_u32 s10, s36, s10
	s_addc_u32 s11, s0, s11
	s_mul_i32 s23, s18, s49
	s_mul_i32 s35, s19, s57
	s_mul_hi_u32 s22, s18, s49
	s_mul_hi_u32 s34, s19, s57
	s_and_b32 s0, s10, 0x3ffffff
	s_lshr_b64 s[10:11], s[10:11], 26
	s_mul_i32 s3, s17, s55
	s_add_u32 s23, s35, s23
	s_mul_hi_u32 s2, s17, s55
	s_addc_u32 s22, s34, s22
	s_mul_i32 s12, s16, s56
	s_add_u32 s3, s23, s3
	s_mul_hi_u32 s5, s16, s56
	s_addc_u32 s2, s22, s2
	;; [unrolled: 4-line block ×3, first 2 shown]
	s_add_u32 s3, s3, s21
	s_addc_u32 s2, s2, s13
	s_mul_i32 s37, s0, 0x3d10
	s_add_u32 s3, s3, s8
	s_mul_hi_u32 s36, s0, 0x3d10
	s_addc_u32 s2, s2, s9
	s_add_u32 s3, s3, s37
	s_addc_u32 s2, s2, s36
	s_add_u32 s6, s3, s6
	s_addc_u32 s7, s2, s7
	s_mul_i32 s39, s25, s50
	s_mul_i32 s41, s27, s51
	s_lshr_b64 s[8:9], s[6:7], 26
	s_lshl_b64 s[12:13], s[0:1], 10
	s_mul_hi_u32 s0, s25, s50
	s_mul_hi_u32 s40, s27, s51
	s_mul_i32 s43, s28, s52
	s_add_u32 s39, s41, s39
	s_mul_hi_u32 s42, s28, s52
	s_addc_u32 s0, s40, s0
	s_mul_i32 s45, s26, s53
	s_add_u32 s39, s39, s43
	s_mul_hi_u32 s44, s26, s53
	s_addc_u32 s0, s0, s42
	s_add_u32 s39, s39, s45
	s_addc_u32 s0, s0, s44
	s_add_u32 s10, s39, s10
	s_addc_u32 s11, s0, s11
	s_mul_i32 s34, s18, s48
	s_mul_i32 s36, s19, s49
	s_mul_hi_u32 s23, s18, s48
	s_mul_hi_u32 s35, s19, s49
	s_and_b32 s0, s10, 0x3ffffff
	s_lshr_b64 s[10:11], s[10:11], 26
	s_mul_i32 s38, s24, s57
	s_add_u32 s34, s36, s34
	s_mul_hi_u32 s37, s24, s57
	s_addc_u32 s23, s35, s23
	s_mul_i32 s3, s17, s54
	s_add_u32 s34, s34, s38
	s_mul_hi_u32 s2, s17, s54
	s_addc_u32 s23, s23, s37
	s_mul_i32 s7, s16, s55
	s_add_u32 s3, s34, s3
	s_mul_hi_u32 s5, s16, s55
	s_addc_u32 s2, s23, s2
	s_mul_i32 s22, s15, s56
	s_add_u32 s3, s3, s7
	s_mul_hi_u32 s21, s15, s56
	s_addc_u32 s2, s2, s5
	s_add_u32 s3, s3, s22
	s_addc_u32 s2, s2, s21
	s_mul_i32 s40, s0, 0x3d10
	s_add_u32 s3, s3, s12
	s_mul_hi_u32 s39, s0, 0x3d10
	s_addc_u32 s2, s2, s13
	s_add_u32 s3, s3, s40
	s_addc_u32 s2, s2, s39
	s_add_u32 s8, s3, s8
	s_addc_u32 s9, s2, s9
	s_mul_i32 s36, s27, s50
	s_mul_i32 s44, s28, s51
	s_lshr_b64 s[12:13], s[8:9], 26
	s_lshl_b64 s[34:35], s[0:1], 10
	s_mul_hi_u32 s0, s27, s50
	s_mul_hi_u32 s37, s28, s51
	s_mul_i32 s46, s26, s52
	s_add_u32 s36, s44, s36
	s_mul_hi_u32 s45, s26, s52
	s_addc_u32 s0, s37, s0
	s_add_u32 s36, s36, s46
	s_addc_u32 s0, s0, s45
	s_add_u32 s10, s36, s10
	s_addc_u32 s11, s0, s11
	s_mul_i32 s23, s18, s56
	s_mul_i32 s39, s19, s48
	s_mul_hi_u32 s22, s18, s56
	s_mul_hi_u32 s38, s19, s48
	s_and_b32 s0, s10, 0x3ffffff
	s_lshr_b64 s[36:37], s[10:11], 26
	s_mul_i32 s41, s24, s49
	s_add_u32 s23, s39, s23
	s_mul_hi_u32 s40, s24, s49
	s_addc_u32 s22, s38, s22
	s_mul_i32 s43, s25, s57
	s_add_u32 s23, s23, s41
	s_mul_hi_u32 s42, s25, s57
	s_addc_u32 s22, s22, s40
	;; [unrolled: 4-line block ×5, first 2 shown]
	s_add_u32 s3, s3, s21
	s_addc_u32 s2, s2, s9
	s_mul_i32 s11, s0, 0x3d10
	s_add_u32 s3, s3, s34
	s_mul_hi_u32 s10, s0, 0x3d10
	s_addc_u32 s2, s2, s35
	s_add_u32 s3, s3, s11
	s_addc_u32 s2, s2, s10
	s_add_u32 s10, s3, s12
	s_addc_u32 s11, s2, s13
	s_mul_i32 s45, s28, s50
	s_mul_i32 s46, s26, s51
	s_lshr_b64 s[12:13], s[10:11], 26
	s_lshl_b64 s[34:35], s[0:1], 10
	s_mul_hi_u32 s0, s28, s50
	s_mul_hi_u32 s47, s26, s51
	s_add_u32 s45, s46, s45
	s_addc_u32 s0, s47, s0
	s_add_u32 s36, s45, s36
	s_addc_u32 s37, s0, s37
	s_mul_i32 s22, s18, s55
	s_mul_i32 s38, s19, s56
	s_mul_hi_u32 s21, s18, s55
	s_mul_hi_u32 s23, s19, s56
	s_and_b32 s0, s36, 0x3ffffff
	s_lshr_b64 s[36:37], s[36:37], 26
	s_mul_i32 s40, s24, s48
	s_add_u32 s22, s38, s22
	s_mul_hi_u32 s39, s24, s48
	s_addc_u32 s21, s23, s21
	s_mul_i32 s42, s25, s49
	s_add_u32 s22, s22, s40
	s_mul_hi_u32 s41, s25, s49
	s_addc_u32 s21, s21, s39
	;; [unrolled: 4-line block ×6, first 2 shown]
	s_add_u32 s3, s3, s11
	s_addc_u32 s2, s2, s9
	s_mul_i32 s46, s0, 0x3d10
	s_add_u32 s3, s3, s34
	s_mul_hi_u32 s45, s0, 0x3d10
	s_addc_u32 s2, s2, s35
	s_add_u32 s3, s3, s46
	s_addc_u32 s2, s2, s45
	s_add_u32 s12, s3, s12
	s_addc_u32 s13, s2, s13
	s_lshl_b64 s[38:39], s[0:1], 10
	s_mul_i32 s0, s26, s50
	s_lshr_b64 s[34:35], s[12:13], 26
	s_mul_hi_u32 s3, s26, s50
	s_add_u32 s2, s36, s0
	s_addc_u32 s3, s37, s3
	s_mul_hi_u32 s21, s18, s54
	s_mul_i32 s18, s18, s54
	s_mul_hi_u32 s22, s19, s55
	s_mul_i32 s19, s19, s55
	;; [unrolled: 2-line block ×4, first 2 shown]
	s_and_b32 s0, s2, 0x3ffffff
	s_lshr_b64 s[16:17], s[2:3], 26
	s_mul_hi_u32 s23, s24, s56
	s_mul_i32 s24, s24, s56
	s_add_u32 s18, s19, s18
	s_addc_u32 s19, s22, s21
	s_mul_hi_u32 s40, s25, s48
	s_mul_i32 s25, s25, s48
	s_add_u32 s18, s18, s24
	s_addc_u32 s19, s19, s23
	s_mul_hi_u32 s41, s27, s49
	s_mul_i32 s27, s27, s49
	s_add_u32 s18, s18, s25
	s_addc_u32 s19, s19, s40
	s_mul_hi_u32 s42, s28, s57
	s_mul_i32 s28, s28, s57
	s_add_u32 s18, s18, s27
	s_addc_u32 s19, s19, s41
	s_add_u32 s18, s18, s28
	s_addc_u32 s19, s19, s42
	s_add_u32 s7, s18, s7
	s_addc_u32 s5, s19, s5
	s_mul_hi_u32 s13, s15, s53
	s_mul_i32 s15, s15, s53
	s_add_u32 s7, s7, s11
	s_addc_u32 s5, s5, s9
	v_alignbit_b32 v0, s3, s2, 26
	s_add_u32 s7, s7, s15
	s_addc_u32 s5, s5, s13
	s_mul_i32 s36, s0, 0x3d10
	s_add_u32 s7, s7, s38
	s_addc_u32 s2, s5, s39
	s_mul_hi_u32 s26, s0, 0x3d10
	s_add_u32 s3, s7, s36
	v_readfirstlane_b32 s7, v0
	s_addc_u32 s5, s2, s26
	s_add_u32 s2, s3, s34
	s_addc_u32 s3, s5, s35
	s_lshl_b64 s[24:25], s[0:1], 10
	s_mul_i32 s0, s7, 0x3d10
	s_lshr_b64 s[18:19], s[2:3], 26
	s_mul_hi_u32 s3, s7, 0x3d10
	s_add_u32 s0, s0, s14
	s_addc_u32 s3, s3, 0
	s_add_u32 s0, s0, s24
	s_addc_u32 s3, s3, s25
	s_add_u32 s24, s0, s18
	s_addc_u32 s25, s3, s19
	s_lshl_b64 s[16:17], s[16:17], 14
	s_lshr_b64 s[14:15], s[24:25], 22
	v_readlane_b32 s56, v20, 17
	s_add_u32 s14, s14, s16
	s_addc_u32 s15, s15, s17
	s_mul_hi_u32 s3, s14, 0x3d1
	s_mul_i32 s0, s15, 0x3d1
	s_mul_i32 s5, s14, 0x3d1
	s_add_i32 s3, s3, s0
	s_add_u32 s16, s5, s29
	s_addc_u32 s17, s3, 0
	s_lshl_b64 s[14:15], s[14:15], 6
	s_lshr_b64 s[18:19], s[16:17], 26
	s_add_u32 s0, s14, s30
	s_addc_u32 s3, s15, 0
	s_add_u32 s14, s0, s18
	s_addc_u32 s15, s3, s19
	v_readlane_b32 s92, v20, 15
	s_lshr_b64 s[18:19], s[14:15], 26
	v_readlane_b32 s57, v20, 18
	s_add_u32 s13, s18, s31
	s_mov_b32 s18, 5
	v_readlane_b32 s93, v20, 16
.LBB0_23:                               ; =>This Inner Loop Header: Depth=1
	s_lshl_b32 s19, s16, 1
	s_lshl_b32 s21, s14, 1
	s_lshl_b32 s22, s4, 1
	s_lshl_b32 s23, s6, 1
	s_and_b32 s3, s24, 0x3fffff
	s_and_b32 s11, s10, 0x3ffffff
	;; [unrolled: 1-line block ×7, first 2 shown]
	s_lshl_b32 s7, s13, 1
	s_and_b32 s5, s12, 0x3ffffff
	s_mul_i32 s63, s11, s19
	s_mul_i32 s65, s21, s0
	s_and_b32 s9, s2, 0x3ffffff
	s_mul_hi_u32 s62, s11, s19
	s_mul_hi_u32 s64, s21, s0
	s_mul_i32 s57, s5, s7
	s_mul_hi_u32 s53, s0, s0
	s_mul_i32 s54, s0, s0
	;; [unrolled: 2-line block ×6, first 2 shown]
	s_add_u32 s0, s63, s65
	s_mul_hi_u32 s55, s5, s7
	s_addc_u32 s62, s62, s64
	s_mul_i32 s60, s9, s24
	s_add_u32 s0, s0, s57
	s_mul_hi_u32 s59, s9, s24
	s_addc_u32 s55, s62, s55
	s_mul_i32 s23, s3, s25
	s_add_u32 s0, s0, s60
	s_mul_hi_u32 s22, s3, s25
	s_addc_u32 s55, s55, s59
	s_add_u32 s62, s0, s23
	s_addc_u32 s63, s55, s22
	s_mul_i32 s71, s11, s21
	s_and_b32 s0, s16, 0x3ffffff
	s_mul_hi_u32 s70, s11, s21
	s_and_b32 s16, s62, 0x3fffffe
	s_lshr_b64 s[62:63], s[62:63], 26
	s_mul_i32 s69, s5, s19
	s_mul_hi_u32 s22, s0, s0
	s_mul_i32 s23, s0, s0
	s_add_u32 s0, s71, s54
	s_mul_hi_u32 s68, s5, s19
	s_addc_u32 s53, s70, s53
	s_mul_i32 s50, s9, s7
	s_add_u32 s0, s0, s69
	s_mul_hi_u32 s48, s9, s7
	s_addc_u32 s53, s53, s68
	s_mul_i32 s67, s3, s24
	s_add_u32 s0, s0, s50
	s_mul_hi_u32 s66, s3, s24
	s_addc_u32 s48, s53, s48
	s_add_u32 s0, s0, s67
	s_addc_u32 s48, s48, s66
	s_add_u32 s54, s0, s62
	s_addc_u32 s55, s48, s63
	s_and_b32 s0, s54, 0x3ffffff
	s_lshr_b64 s[54:55], s[54:55], 26
	s_mul_i32 s48, s0, 0x3d10
	s_mul_hi_u32 s50, s0, 0x3d10
	s_add_u32 s62, s48, s23
	s_addc_u32 s63, s50, s22
	s_lshl_b32 s8, s8, 1
	s_lshl_b64 s[68:69], s[0:1], 10
	s_and_b32 s0, s14, 0x3ffffff
	s_and_b32 s8, s8, 0x7fffffe
	s_mul_hi_u32 s39, s11, s11
	s_mul_i32 s41, s11, s11
	s_mul_hi_u32 s28, s11, s7
	s_mul_i32 s29, s11, s7
	s_mul_i32 s75, s5, s21
	s_mul_hi_u32 s58, s11, s25
	s_mul_i32 s87, s11, s25
	s_mul_hi_u32 s51, s11, s24
	;; [unrolled: 2-line block ×6, first 2 shown]
	s_and_b32 s14, s62, 0x3fffffd
	s_lshr_b64 s[62:63], s[62:63], 26
	s_mul_i32 s73, s9, s19
	s_add_u32 s11, s75, s11
	s_mul_hi_u32 s72, s9, s19
	s_addc_u32 s0, s74, s0
	s_mul_i32 s47, s3, s7
	s_add_u32 s11, s11, s73
	s_mul_hi_u32 s46, s3, s7
	s_addc_u32 s0, s0, s72
	s_add_u32 s11, s11, s47
	s_addc_u32 s0, s0, s46
	s_add_u32 s46, s11, s54
	s_addc_u32 s47, s0, s55
	s_and_b32 s0, s46, 0x3ffffff
	s_lshr_b64 s[54:55], s[46:47], 26
	s_add_u32 s23, s68, s23
	s_addc_u32 s22, s69, s22
	s_mul_i32 s46, s0, 0x3d10
	s_add_u32 s23, s23, s62
	s_mul_hi_u32 s11, s0, 0x3d10
	s_addc_u32 s22, s22, s63
	s_add_u32 s62, s23, s46
	s_addc_u32 s63, s22, s11
	s_mul_i32 s57, s5, s8
	s_mul_hi_u32 s53, s5, s8
	s_lshl_b64 s[68:69], s[0:1], 10
	s_and_b32 s46, s62, 0x3ffffff
	s_lshr_b64 s[62:63], s[62:63], 26
	s_mul_i32 s81, s9, s21
	s_add_u32 s0, s57, s41
	s_mul_hi_u32 s80, s9, s21
	s_addc_u32 s11, s53, s39
	s_mul_i32 s79, s3, s19
	s_add_u32 s0, s0, s81
	s_mul_hi_u32 s78, s3, s19
	s_addc_u32 s11, s11, s80
	s_add_u32 s0, s0, s79
	s_addc_u32 s11, s11, s78
	s_add_u32 s54, s0, s54
	s_addc_u32 s55, s11, s55
	s_mul_i32 s77, s13, s25
	s_mul_hi_u32 s76, s13, s25
	s_and_b32 s0, s54, 0x3ffffff
	s_lshr_b64 s[54:55], s[54:55], 26
	s_add_u32 s23, s77, s50
	s_addc_u32 s39, s76, s48
	s_mul_i32 s22, s0, 0x3d10
	s_add_u32 s23, s23, s68
	s_mul_hi_u32 s11, s0, 0x3d10
	s_addc_u32 s39, s39, s69
	s_add_u32 s22, s23, s22
	s_addc_u32 s11, s39, s11
	s_add_u32 s62, s22, s62
	s_addc_u32 s63, s11, s63
	s_lshl_b64 s[68:69], s[0:1], 10
	s_and_b32 s0, s4, 0x3ffffff
	s_lshl_b32 s4, s10, 1
	s_mul_hi_u32 s15, s13, s13
	s_and_b32 s4, s4, 0x7fffffe
	s_mul_i32 s17, s13, s13
	s_mul_hi_u32 s26, s5, s5
	s_mul_i32 s27, s5, s5
	s_mul_hi_u32 s82, s24, s13
	;; [unrolled: 2-line block ×4, first 2 shown]
	s_mul_i32 s43, s5, s24
	s_mul_i32 s60, s9, s8
	s_mul_hi_u32 s22, s0, s25
	s_mul_i32 s23, s0, s25
	s_mul_hi_u32 s41, s0, s24
	s_mul_i32 s47, s0, s24
	s_mul_hi_u32 s48, s7, s0
	s_mul_i32 s50, s7, s0
	s_mul_hi_u32 s53, s0, s0
	s_mul_i32 s57, s0, s0
	s_mul_hi_u32 s0, s4, s5
	s_mul_i32 s5, s4, s5
	s_mul_hi_u32 s59, s9, s8
	s_and_b32 s39, s62, 0x3ffffff
	s_lshr_b64 s[10:11], s[62:63], 26
	s_mul_hi_u32 s84, s3, s21
	s_mul_i32 s21, s3, s21
	s_mul_hi_u32 s65, s9, s4
	s_mul_i32 s66, s9, s4
	;; [unrolled: 2-line block ×3, first 2 shown]
	s_add_u32 s4, s60, s5
	s_addc_u32 s0, s59, s0
	s_add_u32 s4, s4, s21
	s_addc_u32 s0, s0, s84
	s_add_u32 s4, s4, s54
	s_addc_u32 s5, s0, s55
	s_and_b32 s0, s4, 0x3ffffff
	s_lshr_b64 s[54:55], s[4:5], 26
	s_add_u32 s21, s23, s83
	s_addc_u32 s22, s22, s82
	s_mul_i32 s5, s0, 0x3d10
	s_add_u32 s21, s21, s68
	s_mul_hi_u32 s4, s0, 0x3d10
	s_addc_u32 s22, s22, s69
	s_add_u32 s5, s21, s5
	s_addc_u32 s21, s22, s4
	s_add_u32 s4, s5, s10
	s_addc_u32 s5, s21, s11
	s_lshl_b64 s[10:11], s[0:1], 10
	s_and_b32 s0, s6, 0x3ffffff
	s_lshr_b64 s[62:63], s[4:5], 26
	s_mul_hi_u32 s64, s3, s8
	s_mul_i32 s8, s3, s8
	s_mul_hi_u32 s5, s0, s25
	s_mul_i32 s21, s0, s25
	;; [unrolled: 2-line block ×6, first 2 shown]
	s_add_u32 s0, s66, s27
	s_addc_u32 s6, s65, s26
	s_add_u32 s0, s0, s8
	s_addc_u32 s7, s6, s64
	;; [unrolled: 2-line block ×3, first 2 shown]
	s_mul_hi_u32 s37, s9, s25
	s_mul_i32 s40, s9, s25
	s_and_b32 s0, s6, 0x3ffffff
	s_lshr_b64 s[24:25], s[6:7], 26
	s_add_u32 s8, s47, s17
	s_addc_u32 s15, s41, s15
	s_add_u32 s8, s8, s21
	s_addc_u32 s5, s15, s5
	s_mul_i32 s7, s0, 0x3d10
	s_add_u32 s8, s8, s10
	s_mul_hi_u32 s6, s0, 0x3d10
	s_addc_u32 s5, s5, s11
	s_add_u32 s7, s8, s7
	s_addc_u32 s5, s5, s6
	s_add_u32 s6, s7, s62
	s_addc_u32 s7, s5, s63
	s_lshl_b32 s5, s12, 1
	s_lshl_b64 s[10:11], s[0:1], 10
	s_and_b32 s0, s5, 0x7fffffe
	s_lshr_b64 s[26:27], s[6:7], 26
	s_mul_i32 s7, s0, s9
	s_mul_hi_u32 s5, s0, s9
	s_mul_hi_u32 s12, s3, s0
	s_mul_i32 s15, s3, s0
	s_add_u32 s0, s70, s7
	s_addc_u32 s5, s67, s5
	s_add_u32 s8, s0, s24
	s_mul_hi_u32 s30, s9, s9
	s_mul_i32 s31, s9, s9
	s_addc_u32 s9, s5, s25
	s_and_b32 s0, s8, 0x3ffffff
	s_lshr_b64 s[24:25], s[8:9], 26
	s_add_u32 s8, s23, s50
	s_addc_u32 s9, s22, s48
	s_add_u32 s8, s8, s86
	s_addc_u32 s9, s9, s85
	s_mul_i32 s7, s0, 0x3d10
	s_add_u32 s8, s8, s10
	s_mul_hi_u32 s5, s0, 0x3d10
	s_addc_u32 s9, s9, s11
	s_add_u32 s7, s8, s7
	s_addc_u32 s5, s9, s5
	s_add_u32 s8, s7, s26
	s_addc_u32 s9, s5, s27
	s_lshl_b64 s[10:11], s[0:1], 10
	s_lshr_b64 s[26:27], s[8:9], 26
	s_add_u32 s0, s15, s31
	s_addc_u32 s5, s12, s30
	s_add_u32 s24, s0, s24
	s_addc_u32 s25, s5, s25
	s_and_b32 s0, s24, 0x3ffffff
	s_lshr_b64 s[24:25], s[24:25], 26
	s_add_u32 s9, s60, s57
	s_addc_u32 s12, s59, s53
	s_add_u32 s9, s9, s89
	s_addc_u32 s12, s12, s88
	;; [unrolled: 2-line block ×3, first 2 shown]
	s_mul_i32 s7, s0, 0x3d10
	s_add_u32 s9, s9, s10
	s_mul_hi_u32 s5, s0, 0x3d10
	s_addc_u32 s10, s12, s11
	s_add_u32 s7, s9, s7
	s_addc_u32 s5, s10, s5
	s_add_u32 s10, s7, s26
	s_addc_u32 s11, s5, s27
	s_lshl_b32 s2, s2, 1
	s_lshl_b64 s[26:27], s[0:1], 10
	s_and_b32 s0, s2, 0x7fffffe
	s_lshr_b64 s[30:31], s[10:11], 26
	s_mul_i32 s2, s0, s3
	s_mul_hi_u32 s0, s0, s3
	s_add_u32 s2, s24, s2
	s_mul_hi_u32 s36, s3, s3
	s_mul_i32 s38, s3, s3
	s_addc_u32 s3, s25, s0
	s_and_b32 s0, s2, 0x3ffffff
	s_lshr_b64 s[2:3], s[2:3], 26
	s_add_u32 s9, s35, s19
	s_addc_u32 s11, s34, s68
	s_add_u32 s9, s9, s52
	s_addc_u32 s11, s11, s51
	;; [unrolled: 2-line block ×3, first 2 shown]
	s_mul_i32 s7, s0, 0x3d10
	s_add_u32 s9, s9, s26
	s_mul_hi_u32 s5, s0, 0x3d10
	s_addc_u32 s11, s11, s27
	s_add_u32 s7, s9, s7
	s_addc_u32 s5, s11, s5
	s_add_u32 s12, s7, s30
	s_addc_u32 s13, s5, s31
	s_lshl_b64 s[24:25], s[0:1], 10
	s_lshr_b64 s[26:27], s[12:13], 26
	s_add_u32 s2, s2, s38
	s_addc_u32 s3, s3, s36
	s_and_b32 s0, s2, 0x3ffffff
	s_lshr_b64 s[30:31], s[2:3], 26
	s_add_u32 s5, s45, s71
	s_addc_u32 s7, s44, s69
	s_add_u32 s5, s5, s29
	s_addc_u32 s7, s7, s28
	v_alignbit_b32 v0, s3, s2, 26
	s_add_u32 s5, s5, s43
	s_addc_u32 s7, s7, s42
	s_add_u32 s5, s5, s40
	s_addc_u32 s7, s7, s37
	s_mul_i32 s3, s0, 0x3d10
	s_add_u32 s5, s5, s24
	s_mul_hi_u32 s2, s0, 0x3d10
	v_readfirstlane_b32 s9, v0
	s_addc_u32 s7, s7, s25
	s_add_u32 s3, s5, s3
	s_addc_u32 s5, s7, s2
	s_add_u32 s2, s3, s26
	s_addc_u32 s3, s5, s27
	s_mul_hi_u32 s11, s9, 0x3d10
	s_mulk_i32 s9, 0x3d10
	s_lshl_b64 s[24:25], s[0:1], 10
	s_lshr_b64 s[26:27], s[2:3], 26
	s_add_u32 s0, s9, s16
	s_addc_u32 s3, s11, 0
	s_add_u32 s0, s0, s24
	s_addc_u32 s3, s3, s25
	;; [unrolled: 2-line block ×3, first 2 shown]
	s_lshl_b64 s[16:17], s[30:31], 14
	s_lshr_b64 s[26:27], s[24:25], 22
	s_delay_alu instid0(SALU_CYCLE_1)
	s_add_u32 s26, s26, s16
	s_addc_u32 s27, s27, s17
	s_mul_hi_u32 s0, s26, 0x3d1
	s_mul_i32 s3, s27, 0x3d1
	s_mul_i32 s5, s26, 0x3d1
	s_add_i32 s0, s0, s3
	s_add_u32 s16, s5, s14
	s_addc_u32 s17, s0, 0
	s_lshl_b64 s[14:15], s[26:27], 6
	s_lshr_b64 s[26:27], s[16:17], 26
	s_add_u32 s0, s14, s46
	s_addc_u32 s3, s15, 0
	s_add_u32 s14, s0, s26
	s_addc_u32 s15, s3, s27
	s_add_i32 s18, s18, -1
	s_lshr_b64 s[26:27], s[14:15], 26
	s_delay_alu instid0(SALU_CYCLE_1)
	s_add_u32 s13, s26, s39
	s_cmp_lg_u32 s18, 0
	s_cbranch_scc1 .LBB0_23
; %bb.24:
	v_readlane_b32 s93, v20, 13
	s_and_b32 s17, s4, 0x3ffffff
	s_and_b32 s18, s6, 0x3ffffff
	s_mul_i32 s6, s17, s97
	s_and_b32 s19, s8, 0x3ffffff
	s_mul_i32 s8, s18, s96
	s_and_b32 s15, s16, 0x3ffffff
	s_and_b32 s16, s14, 0x3ffffff
	s_mul_hi_u32 s9, s17, s97
	s_mul_hi_u32 s11, s18, s96
	s_and_b32 s25, s10, 0x3ffffff
	s_and_b32 s12, s12, 0x3ffffff
	;; [unrolled: 1-line block ×4, first 2 shown]
	s_mul_i32 s10, s19, s93
	s_add_u32 s6, s8, s6
	s_mul_hi_u32 s14, s19, s93
	s_addc_u32 s8, s11, s9
	s_mul_i32 s22, s25, s91
	s_add_u32 s6, s6, s10
	s_mul_hi_u32 s21, s25, s91
	s_addc_u32 s8, s8, s14
	;; [unrolled: 4-line block ×8, first 2 shown]
	s_add_u32 s2, s1, s4
	s_addc_u32 s3, s0, s7
	s_mul_i32 s10, s17, s98
	s_mul_i32 s21, s18, s97
	s_and_b32 s14, s2, 0x3ffffff
	s_lshr_b64 s[2:3], s[2:3], 26
	s_mul_hi_u32 s9, s17, s98
	s_mul_hi_u32 s11, s18, s97
	s_mul_i32 s23, s19, s96
	s_add_u32 s10, s21, s10
	s_mul_hi_u32 s22, s19, s96
	s_addc_u32 s9, s11, s9
	s_mul_i32 s28, s25, s93
	s_add_u32 s10, s10, s23
	s_mul_hi_u32 s27, s25, s93
	s_addc_u32 s9, s9, s22
	;; [unrolled: 4-line block ×7, first 2 shown]
	s_add_u32 s6, s6, s8
	s_addc_u32 s0, s0, s7
	s_add_u32 s2, s6, s2
	s_addc_u32 s3, s0, s3
	s_and_b32 s0, s2, 0x3ffffff
	s_mul_i32 s4, s15, s20
	s_mul_i32 s6, s0, 0x3d10
	s_mul_hi_u32 s5, s15, s20
	s_lshr_b64 s[2:3], s[2:3], 26
	s_mul_hi_u32 s7, s0, 0x3d10
	s_add_u32 s4, s6, s4
	s_mov_b32 s1, 0
	s_addc_u32 s5, s7, s5
	s_mul_i32 s23, s17, s33
	s_mul_i32 s29, s18, s98
	s_and_b32 s27, s4, 0x3ffffff
	s_lshr_b64 s[4:5], s[4:5], 26
	s_lshl_b64 s[6:7], s[0:1], 10
	s_mul_hi_u32 s22, s17, s33
	s_mul_hi_u32 s28, s18, s98
	s_mul_i32 s31, s19, s97
	s_add_u32 s23, s29, s23
	s_mul_hi_u32 s30, s19, s97
	s_addc_u32 s22, s28, s22
	s_mul_i32 s35, s25, s96
	s_add_u32 s23, s23, s31
	s_mul_hi_u32 s34, s25, s96
	s_addc_u32 s22, s22, s30
	;; [unrolled: 4-line block ×6, first 2 shown]
	s_add_u32 s21, s23, s21
	s_addc_u32 s0, s22, s0
	s_add_u32 s2, s21, s2
	s_addc_u32 s3, s0, s3
	s_mul_i32 s9, s15, s61
	s_mul_i32 s11, s16, s20
	s_mul_hi_u32 s8, s15, s61
	s_mul_hi_u32 s10, s16, s20
	s_and_b32 s0, s2, 0x3ffffff
	s_lshr_b64 s[2:3], s[2:3], 26
	s_add_u32 s9, s11, s9
	s_addc_u32 s8, s10, s8
	s_add_u32 s6, s9, s6
	s_addc_u32 s7, s8, s7
	s_mul_i32 s22, s0, 0x3d10
	s_add_u32 s4, s6, s4
	s_mul_hi_u32 s21, s0, 0x3d10
	s_addc_u32 s5, s7, s5
	s_add_u32 s4, s4, s22
	s_addc_u32 s5, s5, s21
	s_mul_i32 s23, s17, s56
	s_mul_i32 s30, s18, s33
	s_and_b32 s28, s4, 0x3ffffff
	s_lshr_b64 s[4:5], s[4:5], 26
	s_lshl_b64 s[6:7], s[0:1], 10
	s_mul_hi_u32 s0, s17, s56
	s_mul_hi_u32 s29, s18, s33
	s_mul_i32 s34, s19, s98
	s_add_u32 s23, s30, s23
	s_mul_hi_u32 s31, s19, s98
	s_addc_u32 s0, s29, s0
	s_mul_i32 s36, s25, s97
	s_add_u32 s23, s23, s34
	s_mul_hi_u32 s35, s25, s97
	s_addc_u32 s0, s0, s31
	s_mul_i32 s38, s12, s96
	s_add_u32 s23, s23, s36
	s_mul_hi_u32 s37, s12, s96
	s_addc_u32 s0, s0, s35
	s_mul_i32 s40, s26, s93
	s_add_u32 s23, s23, s38
	s_mul_hi_u32 s39, s26, s93
	s_addc_u32 s0, s0, s37
	s_mul_i32 s42, s24, s91
	s_add_u32 s23, s23, s40
	s_mul_hi_u32 s41, s24, s91
	s_addc_u32 s0, s0, s39
	s_add_u32 s23, s23, s42
	s_addc_u32 s0, s0, s41
	s_add_u32 s2, s23, s2
	s_addc_u32 s3, s0, s3
	s_mul_i32 s9, s15, s92
	s_mul_i32 s11, s16, s61
	s_mul_hi_u32 s8, s15, s92
	s_mul_hi_u32 s10, s16, s61
	s_and_b32 s0, s2, 0x3ffffff
	s_lshr_b64 s[2:3], s[2:3], 26
	s_mul_i32 s22, s13, s20
	s_add_u32 s9, s11, s9
	s_mul_hi_u32 s21, s13, s20
	s_addc_u32 s8, s10, s8
	s_add_u32 s9, s9, s22
	s_addc_u32 s8, s8, s21
	s_mul_i32 s29, s0, 0x3d10
	s_add_u32 s6, s9, s6
	s_mul_hi_u32 s23, s0, 0x3d10
	s_addc_u32 s7, s8, s7
	s_add_u32 s6, s6, s29
	s_addc_u32 s7, s7, s23
	s_add_u32 s4, s6, s4
	s_addc_u32 s5, s7, s5
	s_mul_i32 s8, s18, s56
	s_mul_i32 s35, s19, s33
	s_and_b32 s29, s4, 0x3ffffff
	s_lshr_b64 s[4:5], s[4:5], 26
	s_lshl_b64 s[6:7], s[0:1], 10
	s_mul_hi_u32 s0, s18, s56
	s_mul_hi_u32 s9, s19, s33
	s_mul_i32 s37, s25, s98
	s_add_u32 s8, s35, s8
	s_mul_hi_u32 s36, s25, s98
	s_addc_u32 s0, s9, s0
	s_mul_i32 s39, s12, s97
	s_add_u32 s8, s8, s37
	s_mul_hi_u32 s38, s12, s97
	s_addc_u32 s0, s0, s36
	;; [unrolled: 4-line block ×4, first 2 shown]
	s_add_u32 s8, s8, s43
	s_addc_u32 s0, s0, s42
	s_add_u32 s2, s8, s2
	s_addc_u32 s3, s0, s3
	s_mul_i32 s11, s15, s91
	s_mul_i32 s34, s17, s20
	s_mul_hi_u32 s10, s15, s91
	s_mul_hi_u32 s31, s17, s20
	s_and_b32 s0, s2, 0x3ffffff
	s_lshr_b64 s[8:9], s[2:3], 26
	s_mul_i32 s22, s16, s92
	s_add_u32 s11, s11, s34
	s_mul_hi_u32 s21, s16, s92
	s_addc_u32 s10, s10, s31
	s_mul_i32 s30, s13, s61
	s_add_u32 s11, s11, s22
	s_mul_hi_u32 s23, s13, s61
	s_addc_u32 s10, s10, s21
	s_add_u32 s11, s11, s30
	s_addc_u32 s10, s10, s23
	s_mul_i32 s3, s0, 0x3d10
	s_add_u32 s6, s11, s6
	s_mul_hi_u32 s2, s0, 0x3d10
	s_addc_u32 s7, s10, s7
	s_add_u32 s3, s6, s3
	s_addc_u32 s6, s7, s2
	s_add_u32 s2, s3, s4
	s_addc_u32 s3, s6, s5
	s_mul_i32 s36, s19, s56
	s_mul_i32 s38, s25, s33
	s_lshr_b64 s[4:5], s[2:3], 26
	s_lshl_b64 s[6:7], s[0:1], 10
	s_mul_hi_u32 s0, s19, s56
	s_mul_hi_u32 s37, s25, s33
	s_mul_i32 s40, s12, s98
	s_add_u32 s36, s38, s36
	s_mul_hi_u32 s39, s12, s98
	s_addc_u32 s0, s37, s0
	s_mul_i32 s42, s26, s97
	s_add_u32 s36, s36, s40
	s_mul_hi_u32 s41, s26, s97
	s_addc_u32 s0, s0, s39
	;; [unrolled: 4-line block ×3, first 2 shown]
	s_add_u32 s36, s36, s44
	s_addc_u32 s0, s0, s43
	s_add_u32 s8, s36, s8
	s_addc_u32 s9, s0, s9
	s_mul_i32 s31, s17, s61
	s_mul_i32 s35, s18, s20
	s_mul_hi_u32 s30, s17, s61
	s_mul_hi_u32 s34, s18, s20
	s_and_b32 s0, s8, 0x3ffffff
	s_lshr_b64 s[8:9], s[8:9], 26
	s_mul_i32 s10, s15, s93
	s_add_u32 s31, s35, s31
	s_mul_hi_u32 s3, s15, s93
	s_addc_u32 s30, s34, s30
	s_mul_i32 s21, s16, s91
	s_add_u32 s10, s31, s10
	s_mul_hi_u32 s11, s16, s91
	s_addc_u32 s3, s30, s3
	;; [unrolled: 4-line block ×3, first 2 shown]
	s_add_u32 s10, s10, s23
	s_addc_u32 s3, s3, s22
	s_mul_i32 s37, s0, 0x3d10
	s_add_u32 s6, s10, s6
	s_mul_hi_u32 s36, s0, 0x3d10
	s_addc_u32 s3, s3, s7
	s_add_u32 s6, s6, s37
	s_addc_u32 s3, s3, s36
	s_add_u32 s4, s6, s4
	s_addc_u32 s5, s3, s5
	s_mul_i32 s39, s25, s56
	s_mul_i32 s41, s12, s33
	s_lshr_b64 s[6:7], s[4:5], 26
	s_lshl_b64 s[10:11], s[0:1], 10
	s_mul_hi_u32 s0, s25, s56
	s_mul_hi_u32 s40, s12, s33
	s_mul_i32 s43, s26, s98
	s_add_u32 s39, s41, s39
	s_mul_hi_u32 s42, s26, s98
	s_addc_u32 s0, s40, s0
	s_mul_i32 s45, s24, s97
	s_add_u32 s39, s39, s43
	s_mul_hi_u32 s44, s24, s97
	s_addc_u32 s0, s0, s42
	s_add_u32 s39, s39, s45
	s_addc_u32 s0, s0, s44
	s_add_u32 s8, s39, s8
	s_addc_u32 s9, s0, s9
	s_mul_i32 s34, s17, s92
	s_mul_i32 s36, s18, s61
	s_mul_hi_u32 s31, s17, s92
	s_mul_hi_u32 s35, s18, s61
	s_and_b32 s0, s8, 0x3ffffff
	s_lshr_b64 s[8:9], s[8:9], 26
	s_mul_i32 s38, s19, s20
	s_add_u32 s34, s36, s34
	s_mul_hi_u32 s37, s19, s20
	s_addc_u32 s31, s35, s31
	s_mul_i32 s5, s15, s96
	s_add_u32 s34, s34, s38
	s_mul_hi_u32 s3, s15, s96
	s_addc_u32 s31, s31, s37
	;; [unrolled: 4-line block ×4, first 2 shown]
	s_add_u32 s5, s5, s30
	s_addc_u32 s3, s3, s23
	s_mul_i32 s40, s0, 0x3d10
	s_add_u32 s5, s5, s10
	s_mul_hi_u32 s39, s0, 0x3d10
	s_addc_u32 s3, s3, s11
	s_add_u32 s5, s5, s40
	s_addc_u32 s3, s3, s39
	s_add_u32 s6, s5, s6
	s_addc_u32 s7, s3, s7
	s_mul_i32 s34, s12, s56
	s_mul_i32 s44, s26, s33
	s_lshr_b64 s[10:11], s[6:7], 26
	s_lshl_b64 s[30:31], s[0:1], 10
	s_mul_hi_u32 s0, s12, s56
	s_mul_hi_u32 s35, s26, s33
	s_mul_i32 s46, s24, s98
	s_add_u32 s34, s44, s34
	s_mul_hi_u32 s45, s24, s98
	s_addc_u32 s0, s35, s0
	s_add_u32 s34, s34, s46
	s_addc_u32 s0, s0, s45
	s_add_u32 s8, s34, s8
	s_addc_u32 s9, s0, s9
	s_mul_i32 s37, s17, s91
	s_mul_i32 s39, s18, s92
	s_mul_hi_u32 s36, s17, s91
	s_mul_hi_u32 s38, s18, s92
	s_and_b32 s0, s8, 0x3ffffff
	s_lshr_b64 s[34:35], s[8:9], 26
	s_mul_i32 s41, s19, s61
	s_add_u32 s37, s39, s37
	s_mul_hi_u32 s40, s19, s61
	s_addc_u32 s36, s38, s36
	s_mul_i32 s43, s25, s20
	s_add_u32 s37, s37, s41
	s_mul_hi_u32 s42, s25, s20
	s_addc_u32 s36, s36, s40
	;; [unrolled: 4-line block ×5, first 2 shown]
	s_add_u32 s5, s5, s23
	s_addc_u32 s3, s3, s22
	s_mul_i32 s9, s0, 0x3d10
	s_add_u32 s5, s5, s30
	s_mul_hi_u32 s8, s0, 0x3d10
	s_addc_u32 s3, s3, s31
	s_add_u32 s5, s5, s9
	s_addc_u32 s3, s3, s8
	s_add_u32 s8, s5, s10
	s_addc_u32 s9, s3, s11
	s_mul_i32 s45, s26, s56
	s_mul_i32 s46, s24, s33
	s_lshr_b64 s[10:11], s[8:9], 26
	s_lshl_b64 s[30:31], s[0:1], 10
	s_mul_hi_u32 s0, s26, s56
	s_mul_hi_u32 s47, s24, s33
	s_add_u32 s45, s46, s45
	s_addc_u32 s0, s47, s0
	s_add_u32 s34, s45, s34
	s_addc_u32 s35, s0, s35
	s_mul_i32 s36, s17, s93
	s_mul_i32 s38, s18, s91
	s_mul_hi_u32 s23, s17, s93
	s_mul_hi_u32 s37, s18, s91
	s_and_b32 s0, s34, 0x3ffffff
	s_lshr_b64 s[34:35], s[34:35], 26
	s_mul_i32 s40, s19, s92
	s_add_u32 s36, s38, s36
	s_mul_hi_u32 s39, s19, s92
	s_addc_u32 s23, s37, s23
	s_mul_i32 s42, s25, s61
	s_add_u32 s36, s36, s40
	s_mul_hi_u32 s41, s25, s61
	s_addc_u32 s23, s23, s39
	;; [unrolled: 4-line block ×6, first 2 shown]
	s_add_u32 s5, s5, s22
	s_addc_u32 s3, s3, s21
	s_mul_i32 s46, s0, 0x3d10
	s_add_u32 s5, s5, s30
	s_mul_hi_u32 s45, s0, 0x3d10
	s_addc_u32 s3, s3, s31
	s_add_u32 s5, s5, s46
	s_addc_u32 s3, s3, s45
	s_add_u32 s10, s5, s10
	s_addc_u32 s11, s3, s11
	s_lshl_b64 s[36:37], s[0:1], 10
	s_mul_i32 s0, s24, s56
	s_lshr_b64 s[30:31], s[10:11], 26
	s_mul_hi_u32 s9, s13, s97
	s_mul_i32 s11, s13, s97
	s_mul_hi_u32 s13, s24, s56
	s_mul_hi_u32 s40, s12, s61
	s_mul_i32 s41, s12, s61
	s_add_u32 s12, s34, s0
	s_addc_u32 s13, s35, s13
	s_mul_i32 s22, s17, s96
	s_mul_hi_u32 s23, s18, s93
	s_mul_i32 s18, s18, s93
	s_mul_hi_u32 s5, s16, s98
	;; [unrolled: 2-line block ×3, first 2 shown]
	s_and_b32 s0, s12, 0x3ffffff
	s_lshr_b64 s[16:17], s[12:13], 26
	s_mul_hi_u32 s38, s19, s91
	s_mul_i32 s19, s19, s91
	s_add_u32 s18, s18, s22
	s_addc_u32 s21, s23, s21
	s_mul_hi_u32 s39, s25, s92
	s_mul_i32 s25, s25, s92
	s_add_u32 s18, s18, s19
	s_addc_u32 s19, s21, s38
	s_add_u32 s18, s18, s25
	s_addc_u32 s19, s19, s39
	s_mul_hi_u32 s42, s26, s20
	s_mul_i32 s26, s26, s20
	s_add_u32 s18, s18, s41
	s_addc_u32 s19, s19, s40
	s_mul_hi_u32 s3, s15, s33
	s_mul_i32 s15, s15, s33
	s_add_u32 s18, s18, s26
	s_addc_u32 s19, s19, s42
	s_add_u32 s15, s18, s15
	s_addc_u32 s3, s19, s3
	;; [unrolled: 2-line block ×4, first 2 shown]
	v_alignbit_b32 v0, s13, s12, 26
	s_mul_i32 s34, s0, 0x3d10
	s_add_u32 s5, s5, s36
	s_mul_hi_u32 s24, s0, 0x3d10
	s_addc_u32 s3, s3, s37
	s_add_u32 s5, s5, s34
	s_addc_u32 s3, s3, s24
	s_add_u32 s12, s5, s30
	v_readfirstlane_b32 s5, v0
	s_addc_u32 s13, s3, s31
	s_lshl_b64 s[24:25], s[0:1], 10
	s_lshr_b64 s[18:19], s[12:13], 26
	s_delay_alu instid0(VALU_DEP_1)
	s_mul_i32 s0, s5, 0x3d10
	s_mul_hi_u32 s3, s5, 0x3d10
	s_add_u32 s0, s0, s14
	s_addc_u32 s3, s3, 0
	s_add_u32 s0, s0, s24
	s_addc_u32 s3, s3, s25
	;; [unrolled: 2-line block ×3, first 2 shown]
	s_lshl_b64 s[16:17], s[16:17], 14
	s_lshr_b64 s[14:15], s[24:25], 22
	s_delay_alu instid0(SALU_CYCLE_1)
	s_add_u32 s14, s14, s16
	s_addc_u32 s15, s15, s17
	s_mul_hi_u32 s3, s14, 0x3d1
	s_mul_i32 s0, s15, 0x3d1
	s_mul_i32 s5, s14, 0x3d1
	s_add_i32 s3, s3, s0
	s_add_u32 s16, s5, s27
	s_addc_u32 s17, s3, 0
	s_lshl_b64 s[14:15], s[14:15], 6
	s_lshr_b64 s[18:19], s[16:17], 26
	s_add_u32 s0, s14, s28
	s_addc_u32 s3, s15, 0
	s_add_u32 s14, s0, s18
	s_addc_u32 s15, s3, s19
	s_delay_alu instid0(SALU_CYCLE_1) | instskip(NEXT) | instid1(SALU_CYCLE_1)
	s_lshr_b64 s[18:19], s[14:15], 26
	s_add_u32 s13, s18, s29
	s_mov_b32 s18, 3
.LBB0_25:                               ; =>This Inner Loop Header: Depth=1
	s_lshl_b32 s19, s16, 1
	s_lshl_b32 s21, s14, 1
	;; [unrolled: 1-line block ×4, first 2 shown]
	s_and_b32 s11, s24, 0x3fffff
	s_and_b32 s9, s8, 0x3ffffff
	;; [unrolled: 1-line block ×7, first 2 shown]
	s_lshl_b32 s5, s13, 1
	s_and_b32 s3, s10, 0x3ffffff
	s_mul_i32 s63, s9, s19
	s_mul_i32 s65, s21, s0
	s_and_b32 s7, s12, 0x3ffffff
	s_mul_hi_u32 s62, s9, s19
	s_mul_hi_u32 s64, s21, s0
	s_mul_i32 s57, s3, s5
	s_mul_hi_u32 s53, s0, s0
	s_mul_i32 s54, s0, s0
	;; [unrolled: 2-line block ×6, first 2 shown]
	s_add_u32 s0, s63, s65
	s_mul_hi_u32 s55, s3, s5
	s_addc_u32 s62, s62, s64
	s_mul_i32 s60, s7, s24
	s_add_u32 s0, s0, s57
	s_mul_hi_u32 s59, s7, s24
	s_addc_u32 s55, s62, s55
	s_mul_i32 s23, s11, s25
	s_add_u32 s0, s0, s60
	s_mul_hi_u32 s22, s11, s25
	s_addc_u32 s55, s55, s59
	s_add_u32 s62, s0, s23
	s_addc_u32 s63, s55, s22
	s_mul_i32 s71, s9, s21
	s_and_b32 s0, s16, 0x3ffffff
	s_mul_hi_u32 s70, s9, s21
	s_and_b32 s16, s62, 0x3fffffe
	s_lshr_b64 s[62:63], s[62:63], 26
	s_mul_i32 s69, s3, s19
	s_mul_hi_u32 s22, s0, s0
	s_mul_i32 s23, s0, s0
	s_add_u32 s0, s71, s54
	s_mul_hi_u32 s68, s3, s19
	s_addc_u32 s53, s70, s53
	s_mul_i32 s50, s7, s5
	s_add_u32 s0, s0, s69
	s_mul_hi_u32 s48, s7, s5
	s_addc_u32 s53, s53, s68
	;; [unrolled: 4-line block ×3, first 2 shown]
	s_add_u32 s0, s0, s67
	s_addc_u32 s48, s48, s66
	s_add_u32 s54, s0, s62
	s_addc_u32 s55, s48, s63
	s_and_b32 s0, s54, 0x3ffffff
	s_lshr_b64 s[54:55], s[54:55], 26
	s_mul_i32 s48, s0, 0x3d10
	s_mul_hi_u32 s50, s0, 0x3d10
	s_add_u32 s62, s48, s23
	s_addc_u32 s63, s50, s22
	s_lshl_b32 s6, s6, 1
	s_lshl_b64 s[68:69], s[0:1], 10
	s_and_b32 s0, s14, 0x3ffffff
	s_and_b32 s6, s6, 0x7fffffe
	s_mul_hi_u32 s38, s9, s9
	s_mul_i32 s40, s9, s9
	s_mul_hi_u32 s28, s9, s5
	s_mul_i32 s29, s9, s5
	s_mul_i32 s75, s3, s21
	s_mul_hi_u32 s58, s9, s25
	s_mul_i32 s87, s9, s25
	s_mul_hi_u32 s51, s9, s24
	;; [unrolled: 2-line block ×6, first 2 shown]
	s_and_b32 s14, s62, 0x3fffffd
	s_lshr_b64 s[62:63], s[62:63], 26
	s_mul_i32 s73, s7, s19
	s_add_u32 s9, s75, s9
	s_mul_hi_u32 s72, s7, s19
	s_addc_u32 s0, s74, s0
	s_mul_i32 s46, s11, s5
	s_add_u32 s9, s9, s73
	s_mul_hi_u32 s45, s11, s5
	s_addc_u32 s0, s0, s72
	s_add_u32 s9, s9, s46
	s_addc_u32 s0, s0, s45
	s_add_u32 s54, s9, s54
	s_addc_u32 s55, s0, s55
	s_and_b32 s0, s54, 0x3ffffff
	s_lshr_b64 s[54:55], s[54:55], 26
	s_add_u32 s23, s68, s23
	s_addc_u32 s22, s69, s22
	s_mul_i32 s45, s0, 0x3d10
	s_add_u32 s23, s23, s62
	s_mul_hi_u32 s9, s0, 0x3d10
	s_addc_u32 s22, s22, s63
	s_add_u32 s62, s23, s45
	s_addc_u32 s63, s22, s9
	s_mul_i32 s57, s3, s6
	s_mul_hi_u32 s53, s3, s6
	s_lshl_b64 s[68:69], s[0:1], 10
	s_and_b32 s45, s62, 0x3ffffff
	s_lshr_b64 s[62:63], s[62:63], 26
	s_mul_i32 s81, s7, s21
	s_add_u32 s0, s57, s40
	s_mul_hi_u32 s80, s7, s21
	s_addc_u32 s9, s53, s38
	s_mul_i32 s79, s11, s19
	s_add_u32 s0, s0, s81
	s_mul_hi_u32 s78, s11, s19
	s_addc_u32 s9, s9, s80
	s_add_u32 s0, s0, s79
	s_addc_u32 s9, s9, s78
	s_add_u32 s54, s0, s54
	s_addc_u32 s55, s9, s55
	s_mul_i32 s77, s13, s25
	s_mul_hi_u32 s76, s13, s25
	s_and_b32 s0, s54, 0x3ffffff
	s_lshr_b64 s[54:55], s[54:55], 26
	s_add_u32 s23, s77, s50
	s_addc_u32 s38, s76, s48
	s_mul_i32 s22, s0, 0x3d10
	s_add_u32 s23, s23, s68
	s_mul_hi_u32 s9, s0, 0x3d10
	s_addc_u32 s38, s38, s69
	s_add_u32 s22, s23, s22
	s_addc_u32 s9, s38, s9
	s_add_u32 s62, s22, s62
	s_addc_u32 s63, s9, s63
	s_lshl_b64 s[68:69], s[0:1], 10
	s_and_b32 s0, s2, 0x3ffffff
	s_lshl_b32 s2, s8, 1
	s_mul_hi_u32 s26, s3, s3
	s_and_b32 s2, s2, 0x7fffffe
	s_mul_i32 s27, s3, s3
	s_mul_hi_u32 s47, s3, s25
	s_mul_i32 s49, s3, s25
	s_mul_hi_u32 s41, s3, s24
	s_mul_i32 s42, s3, s24
	s_mul_i32 s60, s7, s6
	s_mul_hi_u32 s22, s0, s25
	s_mul_i32 s23, s0, s25
	s_mul_hi_u32 s40, s0, s24
	;; [unrolled: 2-line block ×6, first 2 shown]
	s_and_b32 s38, s62, 0x3ffffff
	s_lshr_b64 s[8:9], s[62:63], 26
	s_mul_hi_u32 s84, s11, s21
	s_mul_i32 s21, s11, s21
	s_mul_hi_u32 s65, s7, s2
	s_mul_i32 s66, s7, s2
	;; [unrolled: 2-line block ×3, first 2 shown]
	s_add_u32 s2, s60, s3
	s_addc_u32 s0, s59, s0
	s_add_u32 s2, s2, s21
	s_addc_u32 s0, s0, s84
	;; [unrolled: 2-line block ×3, first 2 shown]
	s_mul_i32 s83, s24, s13
	s_mul_hi_u32 s82, s24, s13
	s_and_b32 s0, s2, 0x3ffffff
	s_lshr_b64 s[54:55], s[2:3], 26
	s_add_u32 s21, s23, s83
	s_addc_u32 s22, s22, s82
	s_mul_i32 s3, s0, 0x3d10
	s_add_u32 s21, s21, s68
	s_mul_hi_u32 s2, s0, 0x3d10
	s_addc_u32 s22, s22, s69
	s_add_u32 s3, s21, s3
	s_addc_u32 s21, s22, s2
	s_add_u32 s2, s3, s8
	s_addc_u32 s3, s21, s9
	s_lshl_b64 s[8:9], s[0:1], 10
	s_and_b32 s0, s4, 0x3ffffff
	s_lshr_b64 s[62:63], s[2:3], 26
	s_mul_hi_u32 s64, s11, s6
	s_mul_i32 s6, s11, s6
	s_mul_hi_u32 s3, s0, s25
	s_mul_i32 s21, s0, s25
	;; [unrolled: 2-line block ×6, first 2 shown]
	s_add_u32 s0, s66, s27
	s_addc_u32 s4, s65, s26
	s_add_u32 s0, s0, s6
	s_addc_u32 s5, s4, s64
	;; [unrolled: 2-line block ×3, first 2 shown]
	s_mul_i32 s17, s13, s13
	s_mul_hi_u32 s15, s13, s13
	s_mul_hi_u32 s13, s7, s25
	s_mul_i32 s39, s7, s25
	s_and_b32 s0, s4, 0x3ffffff
	s_lshr_b64 s[24:25], s[4:5], 26
	s_add_u32 s6, s46, s17
	s_addc_u32 s15, s40, s15
	s_add_u32 s6, s6, s21
	s_addc_u32 s3, s15, s3
	s_mul_i32 s5, s0, 0x3d10
	s_add_u32 s6, s6, s8
	s_mul_hi_u32 s4, s0, 0x3d10
	s_addc_u32 s3, s3, s9
	s_add_u32 s5, s6, s5
	s_addc_u32 s3, s3, s4
	s_add_u32 s4, s5, s62
	s_addc_u32 s5, s3, s63
	s_lshl_b32 s3, s10, 1
	s_lshl_b64 s[8:9], s[0:1], 10
	s_and_b32 s0, s3, 0x7fffffe
	s_lshr_b64 s[26:27], s[4:5], 26
	s_mul_i32 s5, s0, s7
	s_mul_hi_u32 s3, s0, s7
	s_mul_hi_u32 s10, s11, s0
	s_mul_i32 s15, s11, s0
	s_add_u32 s0, s70, s5
	s_addc_u32 s3, s67, s3
	s_add_u32 s6, s0, s24
	s_mul_hi_u32 s30, s7, s7
	s_mul_i32 s31, s7, s7
	s_addc_u32 s7, s3, s25
	s_and_b32 s0, s6, 0x3ffffff
	s_lshr_b64 s[24:25], s[6:7], 26
	s_add_u32 s6, s23, s50
	s_addc_u32 s7, s22, s48
	s_add_u32 s6, s6, s86
	s_addc_u32 s7, s7, s85
	s_mul_i32 s5, s0, 0x3d10
	s_add_u32 s6, s6, s8
	s_mul_hi_u32 s3, s0, 0x3d10
	s_addc_u32 s7, s7, s9
	s_add_u32 s5, s6, s5
	s_addc_u32 s3, s7, s3
	s_add_u32 s6, s5, s26
	s_addc_u32 s7, s3, s27
	s_lshl_b64 s[8:9], s[0:1], 10
	s_lshr_b64 s[26:27], s[6:7], 26
	s_add_u32 s0, s15, s31
	s_addc_u32 s3, s10, s30
	s_add_u32 s24, s0, s24
	s_addc_u32 s25, s3, s25
	s_and_b32 s0, s24, 0x3ffffff
	s_lshr_b64 s[24:25], s[24:25], 26
	s_add_u32 s7, s60, s57
	s_addc_u32 s10, s59, s53
	s_add_u32 s7, s7, s89
	s_addc_u32 s10, s10, s88
	;; [unrolled: 2-line block ×3, first 2 shown]
	s_mul_i32 s5, s0, 0x3d10
	s_add_u32 s7, s7, s8
	s_mul_hi_u32 s3, s0, 0x3d10
	s_addc_u32 s8, s10, s9
	s_add_u32 s5, s7, s5
	s_addc_u32 s3, s8, s3
	s_add_u32 s8, s5, s26
	s_addc_u32 s9, s3, s27
	s_lshl_b32 s3, s12, 1
	s_lshl_b64 s[26:27], s[0:1], 10
	s_and_b32 s0, s3, 0x7fffffe
	s_lshr_b64 s[30:31], s[8:9], 26
	s_mul_i32 s3, s0, s11
	s_mul_hi_u32 s0, s0, s11
	s_add_u32 s10, s24, s3
	s_mul_hi_u32 s36, s11, s11
	s_mul_i32 s37, s11, s11
	s_addc_u32 s11, s25, s0
	s_and_b32 s0, s10, 0x3ffffff
	s_lshr_b64 s[24:25], s[10:11], 26
	s_add_u32 s7, s35, s19
	s_addc_u32 s9, s34, s68
	s_add_u32 s7, s7, s52
	s_addc_u32 s9, s9, s51
	;; [unrolled: 2-line block ×3, first 2 shown]
	s_mul_i32 s5, s0, 0x3d10
	s_add_u32 s7, s7, s26
	s_mul_hi_u32 s3, s0, 0x3d10
	s_addc_u32 s9, s9, s27
	s_add_u32 s5, s7, s5
	s_addc_u32 s3, s9, s3
	s_add_u32 s10, s5, s30
	s_addc_u32 s11, s3, s31
	s_lshl_b64 s[26:27], s[0:1], 10
	s_lshr_b64 s[30:31], s[10:11], 26
	s_add_u32 s24, s24, s37
	s_addc_u32 s25, s25, s36
	s_and_b32 s0, s24, 0x3ffffff
	s_lshr_b64 s[34:35], s[24:25], 26
	s_add_u32 s7, s44, s71
	s_addc_u32 s9, s43, s69
	s_add_u32 s7, s7, s29
	s_addc_u32 s9, s9, s28
	v_alignbit_b32 v0, s25, s24, 26
	s_add_u32 s7, s7, s42
	s_addc_u32 s9, s9, s41
	s_add_u32 s7, s7, s39
	s_addc_u32 s9, s9, s13
	s_mul_i32 s5, s0, 0x3d10
	s_add_u32 s7, s7, s26
	s_mul_hi_u32 s3, s0, 0x3d10
	v_readfirstlane_b32 s11, v0
	s_addc_u32 s9, s9, s27
	s_add_u32 s5, s7, s5
	s_addc_u32 s3, s9, s3
	s_add_u32 s12, s5, s30
	s_addc_u32 s13, s3, s31
	s_mul_hi_u32 s15, s11, 0x3d10
	s_mulk_i32 s11, 0x3d10
	s_lshl_b64 s[24:25], s[0:1], 10
	s_lshr_b64 s[26:27], s[12:13], 26
	s_add_u32 s0, s11, s16
	s_addc_u32 s3, s15, 0
	s_add_u32 s0, s0, s24
	s_addc_u32 s3, s3, s25
	;; [unrolled: 2-line block ×3, first 2 shown]
	s_lshl_b64 s[16:17], s[34:35], 14
	s_lshr_b64 s[26:27], s[24:25], 22
	s_delay_alu instid0(SALU_CYCLE_1)
	s_add_u32 s26, s26, s16
	s_addc_u32 s27, s27, s17
	s_mul_hi_u32 s0, s26, 0x3d1
	s_mul_i32 s3, s27, 0x3d1
	s_mul_i32 s5, s26, 0x3d1
	s_add_i32 s0, s0, s3
	s_add_u32 s16, s5, s14
	s_addc_u32 s17, s0, 0
	s_lshl_b64 s[14:15], s[26:27], 6
	s_lshr_b64 s[26:27], s[16:17], 26
	s_add_u32 s0, s14, s45
	s_addc_u32 s3, s15, 0
	s_add_u32 s14, s0, s26
	s_addc_u32 s15, s3, s27
	s_add_i32 s18, s18, -1
	s_lshr_b64 s[26:27], s[14:15], 26
	s_delay_alu instid0(SALU_CYCLE_1)
	s_add_u32 s13, s26, s38
	s_cmp_lg_u32 s18, 0
	s_cbranch_scc1 .LBB0_25
; %bb.26:
	v_readlane_b32 s50, v20, 26
	v_readlane_b32 s49, v20, 27
	;; [unrolled: 1-line block ×5, first 2 shown]
	s_and_b32 s26, s10, 0x3ffffff
	s_and_b32 s17, s2, 0x3ffffff
	;; [unrolled: 1-line block ×3, first 2 shown]
	v_readlane_b32 s57, v20, 6
	s_mul_i32 s10, s26, s50
	s_mul_hi_u32 s22, s26, s49
	s_mul_i32 s4, s17, s52
	s_and_b32 s18, s6, 0x3ffffff
	s_mul_i32 s6, s19, s53
	s_and_b32 s15, s16, 0x3ffffff
	s_and_b32 s16, s14, 0x3ffffff
	s_mul_hi_u32 s9, s17, s52
	s_mul_hi_u32 s11, s19, s53
	s_and_b32 s25, s8, 0x3ffffff
	s_add_i32 s22, s22, s10
	s_and_b32 s12, s12, 0x3ffffff
	s_and_b32 s24, s24, 0x3fffff
	s_mul_i32 s21, s18, s58
	s_add_u32 s4, s6, s4
	s_mul_hi_u32 s14, s18, s58
	v_readlane_b32 s55, v20, 5
	s_addc_u32 s6, s11, s9
	s_mul_i32 s23, s25, s57
	s_add_u32 s4, s4, s21
	s_mul_hi_u32 s8, s25, s57
	v_readlane_b32 s54, v20, 4
	s_addc_u32 s6, s6, s14
	s_mul_i32 s10, s26, s49
	s_add_u32 s4, s4, s23
	v_readlane_b32 s48, v20, 28
	s_addc_u32 s6, s6, s8
	s_mul_i32 s28, s12, s55
	s_add_u32 s4, s4, s10
	v_readlane_b32 s51, v20, 24
	s_mul_hi_u32 s27, s12, s55
	s_addc_u32 s6, s6, s22
	s_mul_i32 s30, s24, s54
	s_add_u32 s4, s4, s28
	s_mul_hi_u32 s29, s24, s54
	s_addc_u32 s6, s6, s27
	s_mul_i32 s1, s15, s48
	s_add_u32 s4, s4, s30
	;; [unrolled: 4-line block ×4, first 2 shown]
	s_mul_hi_u32 s7, s13, s90
	s_addc_u32 s0, s0, s3
	s_add_u32 s2, s1, s2
	s_addc_u32 s3, s0, s7
	s_mul_i32 s30, s12, s50
	s_mul_hi_u32 s31, s12, s49
	s_mul_i32 s10, s17, s90
	s_mul_i32 s21, s19, s52
	s_and_b32 s14, s2, 0x3ffffff
	s_lshr_b64 s[2:3], s[2:3], 26
	s_mul_hi_u32 s9, s17, s90
	s_mul_hi_u32 s11, s19, s52
	s_add_i32 s31, s31, s30
	s_mul_i32 s23, s18, s53
	s_add_u32 s10, s21, s10
	s_mul_hi_u32 s22, s18, s53
	s_addc_u32 s9, s11, s9
	s_mul_i32 s28, s25, s58
	s_add_u32 s10, s10, s23
	s_mul_hi_u32 s27, s25, s58
	s_addc_u32 s9, s9, s22
	;; [unrolled: 4-line block ×3, first 2 shown]
	s_mul_i32 s30, s12, s49
	s_add_u32 s10, s10, s34
	s_addc_u32 s9, s9, s29
	s_mul_i32 s36, s24, s55
	s_add_u32 s10, s10, s30
	s_mul_hi_u32 s35, s24, s55
	s_addc_u32 s9, s9, s31
	s_mul_i32 s6, s16, s48
	s_add_u32 s10, s10, s36
	s_mul_hi_u32 s0, s16, s48
	s_addc_u32 s9, s9, s35
	s_mul_i32 s8, s13, s51
	s_add_u32 s6, s10, s6
	s_mul_hi_u32 s7, s13, s51
	s_addc_u32 s0, s9, s0
	s_add_u32 s6, s6, s8
	s_addc_u32 s0, s0, s7
	s_add_u32 s2, s6, s2
	s_addc_u32 s3, s0, s3
	s_and_b32 s0, s2, 0x3ffffff
	s_mul_i32 s4, s15, s54
	s_mul_i32 s6, s0, 0x3d10
	s_mul_hi_u32 s5, s15, s54
	s_lshr_b64 s[2:3], s[2:3], 26
	s_mul_hi_u32 s7, s0, 0x3d10
	s_add_u32 s4, s6, s4
	s_mov_b32 s1, 0
	s_addc_u32 s5, s7, s5
	s_mul_i32 s39, s24, s50
	s_mul_hi_u32 s40, s24, s49
	s_mul_i32 s23, s17, s51
	s_mul_i32 s29, s19, s90
	s_and_b32 s27, s4, 0x3ffffff
	s_lshr_b64 s[4:5], s[4:5], 26
	s_lshl_b64 s[6:7], s[0:1], 10
	s_mul_hi_u32 s22, s17, s51
	s_mul_hi_u32 s28, s19, s90
	s_add_i32 s40, s40, s39
	s_mul_i32 s31, s18, s52
	s_add_u32 s23, s29, s23
	s_mul_hi_u32 s30, s18, s52
	s_addc_u32 s22, s28, s22
	s_mul_i32 s35, s25, s53
	s_add_u32 s23, s23, s31
	s_mul_hi_u32 s34, s25, s53
	s_addc_u32 s22, s22, s30
	;; [unrolled: 4-line block ×4, first 2 shown]
	s_mul_i32 s39, s24, s49
	s_add_u32 s23, s23, s41
	s_addc_u32 s22, s22, s38
	s_mul_i32 s21, s13, s48
	s_add_u32 s23, s23, s39
	s_mul_hi_u32 s0, s13, s48
	s_addc_u32 s22, s22, s40
	s_add_u32 s21, s23, s21
	s_addc_u32 s0, s22, s0
	s_add_u32 s2, s21, s2
	s_addc_u32 s3, s0, s3
	s_mul_i32 s9, s15, s55
	s_mul_i32 s11, s16, s54
	s_mul_hi_u32 s8, s15, s55
	s_mul_hi_u32 s10, s16, s54
	s_and_b32 s0, s2, 0x3ffffff
	s_lshr_b64 s[2:3], s[2:3], 26
	s_add_u32 s9, s11, s9
	s_addc_u32 s8, s10, s8
	s_add_u32 s6, s9, s6
	s_addc_u32 s7, s8, s7
	s_mul_i32 s22, s0, 0x3d10
	s_add_u32 s4, s6, s4
	s_mul_hi_u32 s21, s0, 0x3d10
	s_addc_u32 s5, s7, s5
	s_add_u32 s4, s4, s22
	s_addc_u32 s5, s5, s21
	s_mul_i32 s8, s15, s50
	s_mul_hi_u32 s9, s15, s49
	s_mul_i32 s23, s17, s48
	s_mul_i32 s30, s19, s51
	s_and_b32 s28, s4, 0x3ffffff
	s_lshr_b64 s[4:5], s[4:5], 26
	s_lshl_b64 s[6:7], s[0:1], 10
	s_add_i32 s9, s9, s8
	s_mul_hi_u32 s0, s17, s48
	s_mul_hi_u32 s29, s19, s51
	s_mul_i32 s34, s18, s90
	s_add_u32 s23, s30, s23
	s_mul_hi_u32 s31, s18, s90
	s_addc_u32 s0, s29, s0
	s_mul_i32 s36, s25, s52
	s_add_u32 s23, s23, s34
	s_mul_hi_u32 s35, s25, s52
	s_addc_u32 s0, s0, s31
	;; [unrolled: 4-line block ×5, first 2 shown]
	s_add_u32 s23, s23, s42
	s_addc_u32 s0, s0, s41
	s_add_u32 s2, s23, s2
	s_addc_u32 s3, s0, s3
	s_mul_i32 s8, s15, s49
	s_mul_i32 s11, s16, s55
	s_mul_hi_u32 s10, s16, s55
	s_and_b32 s0, s2, 0x3ffffff
	s_lshr_b64 s[2:3], s[2:3], 26
	s_mul_i32 s22, s13, s54
	s_add_u32 s8, s11, s8
	s_mul_hi_u32 s21, s13, s54
	s_addc_u32 s9, s10, s9
	s_add_u32 s8, s8, s22
	s_addc_u32 s9, s9, s21
	s_mul_i32 s29, s0, 0x3d10
	s_add_u32 s6, s8, s6
	s_mul_hi_u32 s23, s0, 0x3d10
	s_addc_u32 s7, s9, s7
	s_add_u32 s6, s6, s29
	s_addc_u32 s7, s7, s23
	s_add_u32 s4, s6, s4
	s_addc_u32 s5, s7, s5
	s_lshl_b64 s[6:7], s[0:1], 10
	s_mul_i32 s0, s16, s50
	s_mul_hi_u32 s8, s16, s49
	s_mul_i32 s35, s18, s51
	s_add_i32 s21, s8, s0
	s_mul_i32 s8, s19, s48
	s_and_b32 s29, s4, 0x3ffffff
	s_lshr_b64 s[4:5], s[4:5], 26
	s_mul_hi_u32 s0, s19, s48
	s_mul_hi_u32 s9, s18, s51
	s_mul_i32 s37, s25, s90
	s_add_u32 s8, s35, s8
	s_mul_hi_u32 s36, s25, s90
	s_addc_u32 s0, s9, s0
	s_mul_i32 s39, s26, s52
	s_add_u32 s8, s8, s37
	s_mul_hi_u32 s38, s26, s52
	s_addc_u32 s0, s0, s36
	;; [unrolled: 4-line block ×4, first 2 shown]
	s_add_u32 s8, s8, s43
	s_addc_u32 s0, s0, s42
	s_add_u32 s2, s8, s2
	s_addc_u32 s3, s0, s3
	s_mul_i32 s11, s15, s57
	s_mul_i32 s34, s17, s54
	s_mul_hi_u32 s10, s15, s57
	s_mul_hi_u32 s31, s17, s54
	s_and_b32 s0, s2, 0x3ffffff
	s_lshr_b64 s[8:9], s[2:3], 26
	s_mul_i32 s22, s16, s49
	s_add_u32 s11, s11, s34
	s_addc_u32 s10, s10, s31
	s_mul_i32 s30, s13, s55
	s_add_u32 s11, s11, s22
	s_mul_hi_u32 s23, s13, s55
	s_addc_u32 s10, s10, s21
	s_add_u32 s11, s11, s30
	s_addc_u32 s10, s10, s23
	s_mul_i32 s3, s0, 0x3d10
	s_add_u32 s6, s11, s6
	s_mul_hi_u32 s2, s0, 0x3d10
	s_addc_u32 s7, s10, s7
	s_add_u32 s3, s6, s3
	s_addc_u32 s6, s7, s2
	s_add_u32 s2, s3, s4
	s_addc_u32 s3, s6, s5
	s_lshl_b64 s[6:7], s[0:1], 10
	s_mul_i32 s0, s13, s50
	s_mul_hi_u32 s21, s13, s49
	s_mul_i32 s36, s18, s48
	s_mul_i32 s38, s25, s51
	s_lshr_b64 s[4:5], s[2:3], 26
	s_add_i32 s21, s21, s0
	s_mul_hi_u32 s0, s18, s48
	s_mul_hi_u32 s37, s25, s51
	s_mul_i32 s40, s26, s90
	s_add_u32 s36, s38, s36
	s_mul_hi_u32 s39, s26, s90
	s_addc_u32 s0, s37, s0
	s_mul_i32 s42, s12, s52
	s_add_u32 s36, s36, s40
	s_mul_hi_u32 s41, s12, s52
	s_addc_u32 s0, s0, s39
	;; [unrolled: 4-line block ×3, first 2 shown]
	s_add_u32 s36, s36, s44
	s_addc_u32 s0, s0, s43
	s_add_u32 s8, s36, s8
	s_addc_u32 s9, s0, s9
	s_mul_i32 s31, s17, s55
	s_mul_i32 s35, s19, s54
	s_mul_hi_u32 s30, s17, s55
	s_mul_hi_u32 s34, s19, s54
	s_and_b32 s0, s8, 0x3ffffff
	s_lshr_b64 s[8:9], s[8:9], 26
	s_mul_i32 s10, s15, s58
	s_add_u32 s31, s35, s31
	s_mul_hi_u32 s3, s15, s58
	s_addc_u32 s30, s34, s30
	s_mul_i32 s22, s16, s57
	s_add_u32 s10, s31, s10
	s_mul_hi_u32 s11, s16, s57
	s_addc_u32 s3, s30, s3
	s_mul_i32 s23, s13, s49
	s_add_u32 s10, s10, s22
	s_addc_u32 s3, s3, s11
	s_add_u32 s10, s10, s23
	s_addc_u32 s3, s3, s21
	s_mul_i32 s37, s0, 0x3d10
	s_add_u32 s6, s10, s6
	s_mul_hi_u32 s36, s0, 0x3d10
	s_addc_u32 s3, s3, s7
	s_add_u32 s6, s6, s37
	s_addc_u32 s3, s3, s36
	s_add_u32 s4, s6, s4
	s_addc_u32 s5, s3, s5
	s_lshl_b64 s[10:11], s[0:1], 10
	s_mul_i32 s0, s17, s50
	s_mul_hi_u32 s30, s17, s49
	s_mul_i32 s39, s25, s48
	s_mul_i32 s41, s26, s51
	s_lshr_b64 s[6:7], s[4:5], 26
	s_add_i32 s30, s30, s0
	s_mul_hi_u32 s0, s25, s48
	s_mul_hi_u32 s40, s26, s51
	s_mul_i32 s43, s12, s90
	s_add_u32 s39, s41, s39
	s_mul_hi_u32 s42, s12, s90
	s_addc_u32 s0, s40, s0
	s_mul_i32 s45, s24, s52
	s_add_u32 s39, s39, s43
	s_mul_hi_u32 s44, s24, s52
	s_addc_u32 s0, s0, s42
	s_add_u32 s39, s39, s45
	s_addc_u32 s0, s0, s44
	s_add_u32 s8, s39, s8
	s_addc_u32 s9, s0, s9
	s_mul_i32 s34, s17, s49
	s_mul_i32 s36, s19, s55
	s_mul_hi_u32 s35, s19, s55
	s_and_b32 s0, s8, 0x3ffffff
	s_lshr_b64 s[8:9], s[8:9], 26
	s_mul_i32 s38, s18, s54
	s_add_u32 s34, s36, s34
	s_mul_hi_u32 s37, s18, s54
	s_addc_u32 s30, s35, s30
	s_mul_i32 s5, s15, s53
	s_add_u32 s34, s34, s38
	s_mul_hi_u32 s3, s15, s53
	s_addc_u32 s30, s30, s37
	;; [unrolled: 4-line block ×4, first 2 shown]
	s_add_u32 s5, s5, s31
	s_addc_u32 s3, s3, s23
	s_mul_i32 s40, s0, 0x3d10
	s_add_u32 s5, s5, s10
	s_mul_hi_u32 s39, s0, 0x3d10
	s_addc_u32 s3, s3, s11
	s_add_u32 s5, s5, s40
	s_addc_u32 s3, s3, s39
	s_add_u32 s6, s5, s6
	s_addc_u32 s7, s3, s7
	s_lshl_b64 s[30:31], s[0:1], 10
	s_mul_i32 s0, s19, s50
	s_mul_hi_u32 s34, s19, s49
	s_mul_i32 s44, s12, s51
	s_add_i32 s38, s34, s0
	s_mul_i32 s34, s26, s48
	s_lshr_b64 s[10:11], s[6:7], 26
	s_mul_hi_u32 s0, s26, s48
	s_mul_hi_u32 s35, s12, s51
	s_mul_i32 s46, s24, s90
	s_add_u32 s34, s44, s34
	s_mul_hi_u32 s45, s24, s90
	s_addc_u32 s0, s35, s0
	s_add_u32 s34, s34, s46
	s_addc_u32 s0, s0, s45
	s_add_u32 s8, s34, s8
	s_addc_u32 s9, s0, s9
	s_mul_i32 s37, s17, s57
	s_mul_i32 s39, s19, s49
	s_mul_hi_u32 s36, s17, s57
	s_and_b32 s0, s8, 0x3ffffff
	s_lshr_b64 s[34:35], s[8:9], 26
	s_mul_i32 s41, s18, s55
	s_add_u32 s37, s39, s37
	s_mul_hi_u32 s40, s18, s55
	s_addc_u32 s36, s38, s36
	s_mul_i32 s43, s25, s54
	s_add_u32 s37, s37, s41
	s_mul_hi_u32 s42, s25, s54
	s_addc_u32 s36, s36, s40
	;; [unrolled: 4-line block ×5, first 2 shown]
	s_add_u32 s5, s5, s23
	s_addc_u32 s3, s3, s22
	s_mul_i32 s9, s0, 0x3d10
	s_add_u32 s5, s5, s30
	s_mul_hi_u32 s8, s0, 0x3d10
	s_addc_u32 s3, s3, s31
	s_add_u32 s5, s5, s9
	s_addc_u32 s3, s3, s8
	s_add_u32 s8, s5, s10
	s_addc_u32 s9, s3, s11
	s_lshl_b64 s[30:31], s[0:1], 10
	s_mul_i32 s0, s18, s50
	s_mul_hi_u32 s38, s18, s49
	s_mul_i32 s45, s12, s48
	s_mul_i32 s46, s24, s51
	s_lshr_b64 s[10:11], s[8:9], 26
	s_add_i32 s38, s38, s0
	s_mul_hi_u32 s0, s12, s48
	s_mul_hi_u32 s47, s24, s51
	s_add_u32 s45, s46, s45
	s_addc_u32 s0, s47, s0
	s_add_u32 s34, s45, s34
	s_addc_u32 s35, s0, s35
	s_mul_i32 s36, s17, s58
	s_mul_i32 s39, s19, s57
	s_mul_hi_u32 s23, s17, s58
	s_mul_hi_u32 s37, s19, s57
	s_and_b32 s0, s34, 0x3ffffff
	s_lshr_b64 s[34:35], s[34:35], 26
	s_mul_i32 s40, s18, s49
	s_add_u32 s36, s39, s36
	s_addc_u32 s23, s37, s23
	s_mul_i32 s42, s25, s55
	s_add_u32 s36, s36, s40
	s_mul_hi_u32 s41, s25, s55
	s_addc_u32 s23, s23, s38
	s_mul_i32 s44, s26, s54
	s_add_u32 s36, s36, s42
	s_mul_hi_u32 s43, s26, s54
	;; [unrolled: 4-line block ×5, first 2 shown]
	s_addc_u32 s3, s3, s7
	s_add_u32 s5, s5, s22
	s_addc_u32 s3, s3, s21
	s_mul_i32 s46, s0, 0x3d10
	s_add_u32 s5, s5, s30
	s_mul_hi_u32 s45, s0, 0x3d10
	s_addc_u32 s3, s3, s31
	s_add_u32 s5, s5, s46
	s_addc_u32 s3, s3, s45
	s_add_u32 s10, s5, s10
	s_addc_u32 s11, s3, s11
	s_lshl_b64 s[36:37], s[0:1], 10
	s_lshr_b64 s[30:31], s[10:11], 26
	s_mul_hi_u32 s9, s13, s52
	s_mul_i32 s11, s13, s52
	s_mul_i32 s0, s25, s50
	s_mul_hi_u32 s13, s25, s49
	s_mul_hi_u32 s41, s12, s54
	s_add_i32 s39, s13, s0
	s_mul_i32 s0, s24, s48
	s_mul_hi_u32 s13, s24, s48
	s_mul_i32 s42, s12, s54
	s_add_u32 s12, s34, s0
	s_addc_u32 s13, s35, s13
	s_mul_i32 s22, s17, s53
	s_mul_hi_u32 s23, s19, s58
	s_mul_i32 s19, s19, s58
	s_mul_hi_u32 s5, s16, s90
	;; [unrolled: 2-line block ×3, first 2 shown]
	s_and_b32 s0, s12, 0x3ffffff
	s_lshr_b64 s[16:17], s[12:13], 26
	s_mul_hi_u32 s38, s18, s57
	s_mul_i32 s18, s18, s57
	s_add_u32 s19, s19, s22
	s_addc_u32 s21, s23, s21
	s_mul_i32 s25, s25, s49
	s_add_u32 s18, s19, s18
	s_addc_u32 s19, s21, s38
	s_mul_hi_u32 s40, s26, s55
	s_mul_i32 s26, s26, s55
	s_add_u32 s18, s18, s25
	s_addc_u32 s19, s19, s39
	s_add_u32 s18, s18, s26
	s_addc_u32 s19, s19, s40
	s_mul_hi_u32 s3, s15, s51
	s_mul_i32 s15, s15, s51
	s_add_u32 s18, s18, s42
	s_addc_u32 s19, s19, s41
	s_add_u32 s15, s18, s15
	s_addc_u32 s3, s19, s3
	;; [unrolled: 2-line block ×4, first 2 shown]
	v_alignbit_b32 v0, s13, s12, 26
	s_mul_i32 s34, s0, 0x3d10
	s_add_u32 s5, s5, s36
	s_mul_hi_u32 s24, s0, 0x3d10
	s_addc_u32 s3, s3, s37
	s_add_u32 s5, s5, s34
	s_addc_u32 s3, s3, s24
	s_add_u32 s12, s5, s30
	v_readfirstlane_b32 s5, v0
	s_addc_u32 s13, s3, s31
	s_lshl_b64 s[24:25], s[0:1], 10
	s_lshr_b64 s[18:19], s[12:13], 26
	s_delay_alu instid0(VALU_DEP_1)
	s_mul_i32 s0, s5, 0x3d10
	s_mul_hi_u32 s3, s5, 0x3d10
	s_add_u32 s0, s0, s14
	s_addc_u32 s3, s3, 0
	s_add_u32 s0, s0, s24
	s_addc_u32 s3, s3, s25
	;; [unrolled: 2-line block ×3, first 2 shown]
	s_lshl_b64 s[16:17], s[16:17], 14
	s_lshr_b64 s[14:15], s[24:25], 22
	s_delay_alu instid0(SALU_CYCLE_1)
	s_add_u32 s16, s14, s16
	s_addc_u32 s17, s15, s17
	s_mul_hi_u32 s3, s16, 0x3d1
	s_mul_i32 s0, s17, 0x3d1
	s_mul_i32 s5, s16, 0x3d1
	s_add_i32 s3, s3, s0
	s_add_u32 s14, s5, s27
	s_addc_u32 s15, s3, 0
	s_lshl_b64 s[16:17], s[16:17], 6
	s_lshr_b64 s[18:19], s[14:15], 26
	s_add_u32 s0, s16, s28
	s_addc_u32 s3, s17, 0
	s_add_u32 s16, s0, s18
	s_addc_u32 s17, s3, s19
	s_delay_alu instid0(SALU_CYCLE_1) | instskip(NEXT) | instid1(SALU_CYCLE_1)
	s_lshr_b64 s[18:19], s[16:17], 26
	s_add_u32 s7, s18, s29
	s_mov_b32 s18, -1
.LBB0_27:                               ; =>This Inner Loop Header: Depth=1
	s_lshl_b32 s19, s14, 1
	s_lshl_b32 s22, s2, 1
	;; [unrolled: 1-line block ×3, first 2 shown]
	s_and_b32 s11, s24, 0x3fffff
	s_lshl_b32 s21, s16, 1
	s_and_b32 s13, s8, 0x3ffffff
	s_and_b32 s0, s6, 0x3ffffff
	;; [unrolled: 1-line block ×5, first 2 shown]
	s_lshl_b32 s5, s7, 1
	s_and_b32 s3, s10, 0x3ffffff
	s_and_b32 s21, s21, 0x7fffffe
	s_mul_i32 s64, s13, s19
	s_mul_i32 s66, s22, s0
	s_and_b32 s9, s12, 0x3ffffff
	s_mul_hi_u32 s63, s13, s19
	s_mul_hi_u32 s65, s22, s0
	s_mul_i32 s57, s3, s5
	s_mul_hi_u32 s53, s0, s0
	s_mul_i32 s54, s0, s0
	;; [unrolled: 2-line block ×6, first 2 shown]
	s_add_u32 s0, s64, s66
	s_mul_hi_u32 s15, s7, s7
	s_mul_i32 s17, s7, s7
	s_mul_hi_u32 s55, s3, s5
	s_mul_hi_u32 s77, s7, s24
	s_mul_i32 s78, s7, s24
	s_mul_hi_u32 s83, s21, s7
	s_mul_i32 s84, s21, s7
	s_addc_u32 s7, s63, s65
	s_mul_i32 s62, s9, s21
	s_add_u32 s0, s0, s57
	s_mul_hi_u32 s60, s9, s21
	s_addc_u32 s7, s7, s55
	s_mul_i32 s59, s11, s24
	s_add_u32 s0, s0, s62
	s_mul_hi_u32 s23, s11, s24
	s_addc_u32 s7, s7, s60
	s_add_u32 s62, s0, s59
	s_addc_u32 s63, s7, s23
	s_mul_i32 s72, s13, s22
	s_and_b32 s0, s14, 0x3ffffff
	s_mul_hi_u32 s71, s13, s22
	s_and_b32 s14, s62, 0x3fffffe
	s_lshr_b64 s[62:63], s[62:63], 26
	s_mul_i32 s70, s3, s19
	s_mul_hi_u32 s7, s0, s0
	s_mul_i32 s23, s0, s0
	s_add_u32 s0, s72, s54
	s_mul_hi_u32 s69, s3, s19
	s_addc_u32 s53, s71, s53
	s_mul_i32 s50, s9, s5
	s_add_u32 s0, s0, s70
	s_mul_hi_u32 s48, s9, s5
	s_addc_u32 s53, s53, s69
	;; [unrolled: 4-line block ×3, first 2 shown]
	s_add_u32 s0, s0, s68
	s_addc_u32 s48, s48, s67
	s_add_u32 s54, s0, s62
	s_addc_u32 s55, s48, s63
	s_and_b32 s0, s54, 0x3ffffff
	s_lshr_b64 s[54:55], s[54:55], 26
	s_mul_i32 s48, s0, 0x3d10
	s_mul_hi_u32 s50, s0, 0x3d10
	s_add_u32 s62, s48, s23
	s_addc_u32 s63, s50, s7
	s_lshl_b32 s23, s6, 1
	s_lshl_b64 s[64:65], s[0:1], 10
	s_and_b32 s0, s16, 0x3ffffff
	s_and_b32 s23, s23, 0x7fffffe
	s_mul_hi_u32 s38, s13, s13
	s_mul_i32 s40, s13, s13
	s_mul_hi_u32 s27, s13, s5
	s_mul_i32 s28, s13, s5
	s_mul_i32 s76, s3, s22
	s_mul_hi_u32 s58, s13, s24
	s_mul_i32 s88, s13, s24
	s_mul_hi_u32 s51, s13, s21
	;; [unrolled: 2-line block ×6, first 2 shown]
	s_and_b32 s16, s62, 0x3fffffd
	s_lshr_b64 s[6:7], s[62:63], 26
	s_mul_i32 s74, s9, s19
	s_add_u32 s13, s76, s13
	s_mul_hi_u32 s73, s9, s19
	s_addc_u32 s0, s75, s0
	s_mul_i32 s46, s11, s5
	s_add_u32 s13, s13, s74
	s_mul_hi_u32 s45, s11, s5
	s_addc_u32 s0, s0, s73
	s_add_u32 s13, s13, s46
	s_addc_u32 s0, s0, s45
	s_add_u32 s54, s13, s54
	s_addc_u32 s55, s0, s55
	s_and_b32 s0, s54, 0x3ffffff
	s_lshr_b64 s[54:55], s[54:55], 26
	s_add_u32 s46, s64, s50
	s_addc_u32 s48, s65, s48
	s_mul_i32 s45, s0, 0x3d10
	s_add_u32 s6, s46, s6
	s_mul_hi_u32 s13, s0, 0x3d10
	s_addc_u32 s7, s48, s7
	s_add_u32 s6, s6, s45
	s_addc_u32 s7, s7, s13
	s_mul_i32 s60, s3, s23
	s_mul_hi_u32 s59, s3, s23
	s_lshl_b64 s[62:63], s[0:1], 10
	s_and_b32 s45, s6, 0x3ffffff
	s_lshr_b64 s[6:7], s[6:7], 26
	s_mul_i32 s82, s9, s22
	s_add_u32 s0, s60, s40
	s_mul_hi_u32 s81, s9, s22
	s_addc_u32 s13, s59, s38
	s_mul_i32 s80, s11, s19
	s_add_u32 s0, s0, s82
	s_mul_hi_u32 s79, s11, s19
	s_addc_u32 s13, s13, s81
	s_add_u32 s0, s0, s80
	s_addc_u32 s13, s13, s79
	s_add_u32 s54, s0, s54
	s_addc_u32 s55, s13, s55
	s_and_b32 s0, s54, 0x3ffffff
	s_lshr_b64 s[54:55], s[54:55], 26
	s_add_u32 s40, s78, s57
	s_addc_u32 s46, s77, s53
	s_mul_i32 s38, s0, 0x3d10
	s_add_u32 s40, s40, s62
	s_mul_hi_u32 s13, s0, 0x3d10
	s_addc_u32 s46, s46, s63
	s_add_u32 s38, s40, s38
	s_addc_u32 s13, s46, s13
	s_add_u32 s6, s38, s6
	s_addc_u32 s7, s13, s7
	s_lshl_b64 s[62:63], s[0:1], 10
	s_and_b32 s0, s2, 0x3ffffff
	s_lshl_b32 s2, s8, 1
	s_mul_hi_u32 s25, s3, s3
	s_and_b32 s2, s2, 0x7fffffe
	s_mul_i32 s26, s3, s3
	s_mul_hi_u32 s47, s3, s24
	s_mul_i32 s49, s3, s24
	s_mul_hi_u32 s41, s3, s21
	s_mul_i32 s42, s3, s21
	s_mul_i32 s67, s9, s23
	s_mul_hi_u32 s8, s0, s24
	s_mul_i32 s13, s0, s24
	s_mul_hi_u32 s40, s0, s21
	;; [unrolled: 2-line block ×6, first 2 shown]
	s_and_b32 s38, s6, 0x3ffffff
	s_lshr_b64 s[6:7], s[6:7], 26
	s_mul_hi_u32 s85, s11, s22
	s_mul_i32 s22, s11, s22
	s_mul_hi_u32 s59, s9, s2
	s_mul_i32 s60, s9, s2
	;; [unrolled: 2-line block ×3, first 2 shown]
	s_add_u32 s2, s67, s3
	s_addc_u32 s0, s66, s0
	s_add_u32 s2, s2, s22
	s_addc_u32 s0, s0, s85
	;; [unrolled: 2-line block ×3, first 2 shown]
	s_and_b32 s0, s2, 0x3ffffff
	s_lshr_b64 s[54:55], s[2:3], 26
	s_add_u32 s13, s13, s84
	s_addc_u32 s8, s8, s83
	s_mul_i32 s3, s0, 0x3d10
	s_add_u32 s13, s13, s62
	s_mul_hi_u32 s2, s0, 0x3d10
	s_addc_u32 s8, s8, s63
	s_add_u32 s3, s13, s3
	s_addc_u32 s8, s8, s2
	s_add_u32 s2, s3, s6
	s_addc_u32 s3, s8, s7
	s_lshl_b64 s[6:7], s[0:1], 10
	s_and_b32 s0, s4, 0x3ffffff
	s_lshr_b64 s[62:63], s[2:3], 26
	s_mul_hi_u32 s68, s11, s23
	s_mul_i32 s23, s11, s23
	s_mul_hi_u32 s3, s0, s24
	s_mul_i32 s8, s0, s24
	;; [unrolled: 2-line block ×6, first 2 shown]
	s_add_u32 s0, s60, s26
	s_addc_u32 s4, s59, s25
	s_add_u32 s0, s0, s23
	s_addc_u32 s5, s4, s68
	;; [unrolled: 2-line block ×3, first 2 shown]
	s_mul_hi_u32 s36, s9, s24
	s_mul_i32 s39, s9, s24
	s_and_b32 s0, s4, 0x3ffffff
	s_lshr_b64 s[24:25], s[4:5], 26
	s_add_u32 s17, s46, s17
	s_addc_u32 s15, s40, s15
	s_add_u32 s8, s17, s8
	s_addc_u32 s3, s15, s3
	s_mul_i32 s5, s0, 0x3d10
	s_add_u32 s6, s8, s6
	s_mul_hi_u32 s4, s0, 0x3d10
	s_addc_u32 s3, s3, s7
	s_add_u32 s5, s6, s5
	s_addc_u32 s3, s3, s4
	s_add_u32 s4, s5, s62
	s_addc_u32 s5, s3, s63
	s_lshl_b32 s3, s10, 1
	s_lshl_b64 s[6:7], s[0:1], 10
	s_and_b32 s0, s3, 0x7fffffe
	s_lshr_b64 s[54:55], s[4:5], 26
	s_mul_i32 s5, s0, s9
	s_mul_hi_u32 s3, s0, s9
	s_mul_hi_u32 s10, s11, s0
	s_mul_i32 s15, s11, s0
	s_add_u32 s0, s65, s5
	s_addc_u32 s3, s64, s3
	s_add_u32 s8, s0, s24
	s_mul_hi_u32 s29, s9, s9
	s_mul_i32 s30, s9, s9
	s_addc_u32 s9, s3, s25
	s_and_b32 s0, s8, 0x3ffffff
	s_lshr_b64 s[8:9], s[8:9], 26
	s_add_u32 s17, s21, s50
	s_addc_u32 s13, s13, s48
	s_add_u32 s17, s17, s87
	s_addc_u32 s13, s13, s86
	s_mul_i32 s5, s0, 0x3d10
	s_add_u32 s6, s17, s6
	s_mul_hi_u32 s3, s0, 0x3d10
	s_addc_u32 s7, s13, s7
	s_add_u32 s5, s6, s5
	s_addc_u32 s3, s7, s3
	s_add_u32 s6, s5, s54
	s_addc_u32 s7, s3, s55
	s_lshl_b64 s[24:25], s[0:1], 10
	s_lshr_b64 s[54:55], s[6:7], 26
	s_add_u32 s0, s15, s30
	s_addc_u32 s3, s10, s29
	s_add_u32 s8, s0, s8
	s_addc_u32 s9, s3, s9
	s_and_b32 s0, s8, 0x3ffffff
	s_lshr_b64 s[62:63], s[8:9], 26
	s_add_u32 s7, s66, s57
	s_addc_u32 s8, s22, s53
	s_add_u32 s7, s7, s90
	s_addc_u32 s8, s8, s89
	;; [unrolled: 2-line block ×3, first 2 shown]
	s_mul_i32 s5, s0, 0x3d10
	s_add_u32 s7, s7, s24
	s_mul_hi_u32 s3, s0, 0x3d10
	s_addc_u32 s8, s8, s25
	s_add_u32 s5, s7, s5
	s_addc_u32 s3, s8, s3
	s_add_u32 s8, s5, s54
	s_addc_u32 s9, s3, s55
	s_lshl_b32 s3, s12, 1
	s_lshl_b64 s[12:13], s[0:1], 10
	s_and_b32 s0, s3, 0x7fffffe
	s_lshr_b64 s[24:25], s[8:9], 26
	s_mul_i32 s3, s0, s11
	s_mul_hi_u32 s0, s0, s11
	s_add_u32 s10, s62, s3
	s_mul_hi_u32 s35, s11, s11
	s_mul_i32 s37, s11, s11
	s_addc_u32 s11, s63, s0
	s_and_b32 s0, s10, 0x3ffffff
	s_lshr_b64 s[54:55], s[10:11], 26
	s_add_u32 s7, s34, s19
	s_addc_u32 s9, s31, s67
	s_add_u32 s7, s7, s52
	s_addc_u32 s9, s9, s51
	;; [unrolled: 2-line block ×3, first 2 shown]
	s_mul_i32 s5, s0, 0x3d10
	s_add_u32 s7, s7, s12
	s_mul_hi_u32 s3, s0, 0x3d10
	s_addc_u32 s9, s9, s13
	s_add_u32 s5, s7, s5
	s_addc_u32 s3, s9, s3
	s_add_u32 s10, s5, s24
	s_addc_u32 s11, s3, s25
	s_lshl_b64 s[12:13], s[0:1], 10
	s_lshr_b64 s[24:25], s[10:11], 26
	s_add_u32 s30, s54, s37
	s_addc_u32 s31, s55, s35
	s_and_b32 s0, s30, 0x3ffffff
	s_lshr_b64 s[34:35], s[30:31], 26
	s_add_u32 s7, s44, s70
	s_addc_u32 s9, s43, s69
	s_add_u32 s7, s7, s28
	s_addc_u32 s9, s9, s27
	v_alignbit_b32 v0, s31, s30, 26
	s_add_u32 s7, s7, s42
	s_addc_u32 s9, s9, s41
	s_add_u32 s7, s7, s39
	s_addc_u32 s9, s9, s36
	s_mul_i32 s5, s0, 0x3d10
	s_add_u32 s7, s7, s12
	s_mul_hi_u32 s3, s0, 0x3d10
	v_readfirstlane_b32 s11, v0
	s_addc_u32 s9, s9, s13
	s_add_u32 s5, s7, s5
	s_addc_u32 s3, s9, s3
	s_add_u32 s12, s5, s24
	s_addc_u32 s13, s3, s25
	s_mul_hi_u32 s15, s11, 0x3d10
	s_mulk_i32 s11, 0x3d10
	s_lshl_b64 s[24:25], s[0:1], 10
	s_lshr_b64 s[26:27], s[12:13], 26
	s_add_u32 s0, s11, s14
	s_addc_u32 s3, s15, 0
	s_add_u32 s0, s0, s24
	s_addc_u32 s3, s3, s25
	;; [unrolled: 2-line block ×3, first 2 shown]
	s_lshl_b64 s[14:15], s[34:35], 14
	s_lshr_b64 s[26:27], s[24:25], 22
	s_delay_alu instid0(SALU_CYCLE_1)
	s_add_u32 s26, s26, s14
	s_addc_u32 s27, s27, s15
	s_mul_hi_u32 s0, s26, 0x3d1
	s_mul_i32 s5, s27, 0x3d1
	s_mul_i32 s3, s26, 0x3d1
	s_add_i32 s0, s0, s5
	s_add_u32 s14, s3, s16
	s_addc_u32 s15, s0, 0
	s_lshl_b64 s[16:17], s[26:27], 6
	s_lshr_b64 s[26:27], s[14:15], 26
	s_add_u32 s0, s16, s45
	s_addc_u32 s3, s17, 0
	s_add_u32 s16, s0, s26
	s_addc_u32 s17, s3, s27
	s_and_b32 vcc_lo, exec_lo, s18
	s_lshr_b64 s[26:27], s[16:17], 26
	s_mov_b32 s18, 0
	s_add_u32 s7, s26, s38
	s_cbranch_vccnz .LBB0_27
; %bb.28:
	s_and_b32 s15, s4, 0x3ffffff
	s_and_b32 s17, s2, 0x3ffffff
	;; [unrolled: 1-line block ×4, first 2 shown]
	s_mul_i32 s2, s15, s96
	s_mul_i32 s24, s17, s97
	s_and_b32 s11, s12, 0x3ffffff
	s_and_b32 s10, s10, 0x3ffffff
	;; [unrolled: 1-line block ×3, first 2 shown]
	s_mul_hi_u32 s22, s15, s96
	s_mul_hi_u32 s23, s17, s97
	s_and_b32 s16, s16, 0x3ffffff
	s_and_b32 s14, s14, 0x3ffffff
	s_mul_i32 s4, s13, s93
	s_add_u32 s2, s2, s24
	s_mul_hi_u32 s21, s13, s93
	s_addc_u32 s22, s22, s23
	s_mul_i32 s6, s12, s91
	s_add_u32 s2, s2, s4
	s_mul_hi_u32 s19, s12, s91
	s_addc_u32 s4, s22, s21
	;; [unrolled: 4-line block ×8, first 2 shown]
	s_add_u32 s2, s1, s26
	s_addc_u32 s3, s0, s25
	s_mul_i32 s28, s15, s97
	s_mul_i32 s30, s17, s98
	s_and_b32 s6, s2, 0x3ffffff
	s_lshr_b64 s[2:3], s[2:3], 26
	s_mul_hi_u32 s27, s15, s97
	s_mul_hi_u32 s29, s17, s98
	s_mul_i32 s26, s13, s96
	s_add_u32 s28, s28, s30
	s_mul_hi_u32 s25, s13, s96
	s_addc_u32 s27, s27, s29
	s_mul_i32 s24, s12, s93
	s_add_u32 s26, s28, s26
	s_mul_hi_u32 s23, s12, s93
	s_addc_u32 s25, s27, s25
	;; [unrolled: 4-line block ×7, first 2 shown]
	s_add_u32 s8, s8, s34
	s_addc_u32 s0, s0, s31
	s_add_u32 s2, s8, s2
	s_addc_u32 s3, s0, s3
	s_and_b32 s0, s2, 0x3ffffff
	s_mul_i32 s4, s14, s20
	s_mul_i32 s8, s0, 0x3d10
	s_mul_hi_u32 s5, s14, s20
	s_lshr_b64 s[2:3], s[2:3], 26
	s_mul_hi_u32 s18, s0, 0x3d10
	s_add_u32 s4, s8, s4
	s_mov_b32 s1, 0
	s_addc_u32 s5, s18, s5
	s_mul_i32 s37, s15, s98
	s_mul_i32 s39, s17, s33
	s_and_b32 s8, s4, 0x3ffffff
	s_lshr_b64 s[4:5], s[4:5], 26
	s_lshl_b64 s[18:19], s[0:1], 10
	s_mul_hi_u32 s36, s15, s98
	s_mul_hi_u32 s38, s17, s33
	s_mul_i32 s35, s13, s97
	s_add_u32 s37, s37, s39
	s_mul_hi_u32 s34, s13, s97
	s_addc_u32 s36, s36, s38
	s_mul_i32 s31, s12, s96
	s_add_u32 s35, s37, s35
	s_mul_hi_u32 s30, s12, s96
	s_addc_u32 s34, s36, s34
	;; [unrolled: 4-line block ×6, first 2 shown]
	s_add_u32 s25, s25, s41
	s_addc_u32 s0, s0, s40
	s_add_u32 s2, s25, s2
	s_addc_u32 s3, s0, s3
	s_mul_i32 s22, s16, s20
	s_mul_i32 s24, s14, s61
	s_mul_hi_u32 s21, s16, s20
	s_mul_hi_u32 s23, s14, s61
	s_and_b32 s0, s2, 0x3ffffff
	s_lshr_b64 s[2:3], s[2:3], 26
	s_add_u32 s22, s22, s24
	s_addc_u32 s21, s21, s23
	s_add_u32 s18, s22, s18
	s_addc_u32 s19, s21, s19
	s_mul_i32 s26, s0, 0x3d10
	s_add_u32 s4, s18, s4
	s_mul_hi_u32 s25, s0, 0x3d10
	s_addc_u32 s5, s19, s5
	s_add_u32 s4, s4, s26
	s_addc_u32 s5, s5, s25
	s_mul_i32 s40, s15, s33
	s_mul_i32 s41, s17, s56
	s_and_b32 s18, s4, 0x3ffffff
	s_lshr_b64 s[4:5], s[4:5], 26
	s_lshl_b64 s[24:25], s[0:1], 10
	s_mul_hi_u32 s39, s15, s33
	s_mul_hi_u32 s42, s17, s56
	s_mul_i32 s38, s13, s98
	s_add_u32 s40, s40, s41
	s_mul_hi_u32 s37, s13, s98
	s_addc_u32 s39, s39, s42
	s_mul_i32 s36, s12, s97
	s_add_u32 s38, s40, s38
	s_mul_hi_u32 s35, s12, s97
	s_addc_u32 s37, s39, s37
	;; [unrolled: 4-line block ×5, first 2 shown]
	s_add_u32 s28, s30, s28
	s_addc_u32 s0, s29, s0
	s_add_u32 s2, s28, s2
	s_addc_u32 s3, s0, s3
	s_mul_i32 s23, s16, s61
	s_mul_i32 s27, s14, s92
	s_mul_hi_u32 s22, s16, s61
	s_mul_hi_u32 s26, s14, s92
	s_and_b32 s0, s2, 0x3ffffff
	s_lshr_b64 s[2:3], s[2:3], 26
	s_mul_i32 s21, s7, s20
	s_add_u32 s23, s23, s27
	s_mul_hi_u32 s19, s7, s20
	s_addc_u32 s22, s22, s26
	s_add_u32 s21, s23, s21
	s_addc_u32 s19, s22, s19
	s_mul_i32 s29, s0, 0x3d10
	s_add_u32 s21, s21, s24
	s_mul_hi_u32 s28, s0, 0x3d10
	s_addc_u32 s19, s19, s25
	s_add_u32 s21, s21, s29
	s_addc_u32 s19, s19, s28
	s_add_u32 s4, s21, s4
	s_addc_u32 s5, s19, s5
	s_mul_i32 s41, s13, s33
	s_mul_i32 s42, s15, s56
	s_and_b32 s19, s4, 0x3ffffff
	s_lshr_b64 s[4:5], s[4:5], 26
	s_lshl_b64 s[24:25], s[0:1], 10
	s_mul_hi_u32 s40, s13, s33
	s_mul_hi_u32 s43, s15, s56
	s_mul_i32 s39, s12, s98
	s_add_u32 s41, s41, s42
	s_mul_hi_u32 s38, s12, s98
	s_addc_u32 s40, s40, s43
	s_mul_i32 s37, s10, s97
	s_add_u32 s39, s41, s39
	s_mul_hi_u32 s36, s10, s97
	s_addc_u32 s38, s40, s38
	;; [unrolled: 4-line block ×4, first 2 shown]
	s_add_u32 s26, s35, s26
	s_addc_u32 s0, s27, s0
	s_add_u32 s2, s26, s2
	s_addc_u32 s3, s0, s3
	s_mul_i32 s22, s17, s20
	s_mul_i32 s34, s14, s91
	s_mul_hi_u32 s21, s17, s20
	s_mul_hi_u32 s31, s14, s91
	s_and_b32 s0, s2, 0x3ffffff
	s_lshr_b64 s[26:27], s[2:3], 26
	s_mul_i32 s30, s16, s92
	s_add_u32 s22, s34, s22
	s_mul_hi_u32 s29, s16, s92
	s_addc_u32 s21, s31, s21
	s_mul_i32 s28, s7, s61
	s_add_u32 s22, s22, s30
	s_mul_hi_u32 s23, s7, s61
	s_addc_u32 s21, s21, s29
	s_add_u32 s22, s22, s28
	s_addc_u32 s21, s21, s23
	s_mul_i32 s3, s0, 0x3d10
	s_add_u32 s22, s22, s24
	s_mul_hi_u32 s2, s0, 0x3d10
	s_addc_u32 s21, s21, s25
	s_add_u32 s3, s22, s3
	s_addc_u32 s21, s21, s2
	s_add_u32 s2, s3, s4
	s_addc_u32 s3, s21, s5
	s_mul_i32 s42, s12, s33
	s_mul_i32 s43, s13, s56
	s_lshr_b64 s[4:5], s[2:3], 26
	s_lshl_b64 s[24:25], s[0:1], 10
	s_mul_hi_u32 s41, s12, s33
	s_mul_hi_u32 s44, s13, s56
	s_mul_i32 s40, s10, s98
	s_add_u32 s42, s42, s43
	s_mul_hi_u32 s39, s10, s98
	s_addc_u32 s41, s41, s44
	s_mul_i32 s38, s11, s97
	s_add_u32 s40, s42, s40
	s_mul_hi_u32 s37, s11, s97
	s_addc_u32 s39, s41, s39
	;; [unrolled: 4-line block ×3, first 2 shown]
	s_add_u32 s36, s38, s36
	s_addc_u32 s0, s37, s0
	s_add_u32 s26, s36, s26
	s_addc_u32 s27, s0, s27
	s_mul_i32 s21, s15, s20
	s_mul_i32 s23, s17, s61
	s_mul_hi_u32 s3, s15, s20
	s_mul_hi_u32 s22, s17, s61
	s_and_b32 s0, s26, 0x3ffffff
	s_lshr_b64 s[26:27], s[26:27], 26
	s_mul_i32 s35, s14, s93
	s_add_u32 s21, s21, s23
	s_mul_hi_u32 s34, s14, s93
	s_addc_u32 s3, s3, s22
	s_mul_i32 s31, s16, s91
	s_add_u32 s21, s21, s35
	s_mul_hi_u32 s30, s16, s91
	s_addc_u32 s3, s3, s34
	;; [unrolled: 4-line block ×3, first 2 shown]
	s_add_u32 s21, s21, s29
	s_addc_u32 s3, s3, s28
	s_mul_i32 s37, s0, 0x3d10
	s_add_u32 s21, s21, s24
	s_mul_hi_u32 s36, s0, 0x3d10
	s_addc_u32 s22, s3, s25
	s_add_u32 s3, s21, s37
	s_mul_i32 s44, s10, s33
	s_mul_i32 s45, s12, s56
	s_addc_u32 s21, s22, s36
	s_lshl_b64 s[24:25], s[0:1], 10
	s_mul_hi_u32 s43, s10, s33
	s_mul_hi_u32 s46, s12, s56
	s_mul_i32 s42, s11, s98
	s_add_u32 s44, s44, s45
	s_mul_hi_u32 s41, s11, s98
	s_addc_u32 s43, s43, s46
	s_mul_i32 s40, s9, s97
	s_add_u32 s42, s44, s42
	s_mul_hi_u32 s0, s9, s97
	s_addc_u32 s41, s43, s41
	s_add_u32 s40, s42, s40
	s_addc_u32 s0, s41, s0
	s_add_u32 s26, s40, s26
	s_addc_u32 s27, s0, s27
	s_mul_i32 s29, s15, s61
	s_mul_i32 s31, s17, s92
	s_mul_hi_u32 s28, s15, s61
	s_mul_hi_u32 s30, s17, s92
	s_and_b32 s0, s26, 0x3ffffff
	s_lshr_b64 s[26:27], s[26:27], 26
	s_mul_i32 s23, s13, s20
	s_add_u32 s29, s29, s31
	s_mul_hi_u32 s22, s13, s20
	s_addc_u32 s28, s28, s30
	s_mul_i32 s39, s14, s96
	s_add_u32 s23, s29, s23
	s_mul_hi_u32 s38, s14, s96
	s_addc_u32 s22, s28, s22
	;; [unrolled: 4-line block ×4, first 2 shown]
	s_add_u32 s23, s23, s35
	s_addc_u32 s22, s22, s34
	s_mul_i32 s41, s0, 0x3d10
	s_add_u32 s23, s23, s24
	s_mul_hi_u32 s40, s0, 0x3d10
	s_addc_u32 s22, s22, s25
	s_add_u32 s23, s23, s41
	s_mul_i32 s46, s11, s33
	s_mul_i32 s47, s10, s56
	s_addc_u32 s22, s22, s40
	s_lshl_b64 s[24:25], s[0:1], 10
	s_mul_hi_u32 s45, s11, s33
	s_mul_hi_u32 s48, s10, s56
	s_mul_i32 s44, s9, s98
	s_add_u32 s46, s46, s47
	s_mul_hi_u32 s0, s9, s98
	s_addc_u32 s45, s45, s48
	s_add_u32 s44, s46, s44
	s_addc_u32 s0, s45, s0
	s_add_u32 s26, s44, s26
	s_addc_u32 s27, s0, s27
	s_mul_i32 s35, s15, s92
	s_mul_i32 s37, s17, s91
	s_mul_hi_u32 s34, s15, s92
	s_mul_hi_u32 s36, s17, s91
	s_and_b32 s0, s26, 0x3ffffff
	s_lshr_b64 s[26:27], s[26:27], 26
	s_mul_i32 s31, s13, s61
	s_add_u32 s35, s35, s37
	s_mul_hi_u32 s30, s13, s61
	s_addc_u32 s34, s34, s36
	s_mul_i32 s29, s12, s20
	s_add_u32 s31, s35, s31
	s_mul_hi_u32 s28, s12, s20
	s_addc_u32 s30, s34, s30
	;; [unrolled: 4-line block ×5, first 2 shown]
	s_add_u32 s29, s29, s39
	s_addc_u32 s28, s28, s38
	s_mul_i32 s45, s0, 0x3d10
	s_add_u32 s24, s29, s24
	s_mul_hi_u32 s44, s0, 0x3d10
	s_addc_u32 s25, s28, s25
	s_add_u32 s28, s24, s45
	s_mul_i32 s48, s9, s33
	s_mul_i32 s49, s11, s56
	s_addc_u32 s29, s25, s44
	s_lshl_b64 s[24:25], s[0:1], 10
	s_mul_hi_u32 s0, s9, s33
	s_mul_hi_u32 s50, s11, s56
	s_add_u32 s48, s48, s49
	s_addc_u32 s0, s0, s50
	s_add_u32 s26, s48, s26
	s_addc_u32 s27, s0, s27
	s_mul_i32 s39, s15, s91
	s_mul_i32 s41, s17, s93
	s_mul_hi_u32 s38, s15, s91
	s_mul_hi_u32 s40, s17, s93
	s_and_b32 s0, s26, 0x3ffffff
	s_lshr_b64 s[26:27], s[26:27], 26
	s_mul_i32 s37, s13, s92
	s_add_u32 s39, s39, s41
	s_mul_hi_u32 s36, s13, s92
	s_addc_u32 s38, s38, s40
	s_mul_i32 s35, s12, s61
	s_add_u32 s37, s39, s37
	s_mul_hi_u32 s34, s12, s61
	s_addc_u32 s36, s38, s36
	;; [unrolled: 4-line block ×6, first 2 shown]
	s_add_u32 s31, s31, s43
	s_addc_u32 s30, s30, s42
	s_mul_i32 s49, s0, 0x3d10
	s_add_u32 s24, s31, s24
	s_mul_hi_u32 s48, s0, 0x3d10
	s_addc_u32 s25, s30, s25
	s_add_u32 s30, s24, s49
	s_addc_u32 s31, s25, s48
	s_lshl_b64 s[24:25], s[0:1], 10
	s_mul_i32 s0, s9, s56
	s_mul_hi_u32 s9, s9, s56
	s_mul_hi_u32 s36, s10, s61
	s_mul_i32 s37, s10, s61
	s_add_u32 s10, s26, s0
	s_mul_hi_u32 s34, s11, s20
	s_mul_i32 s35, s11, s20
	s_addc_u32 s11, s27, s9
	s_mul_hi_u32 s42, s15, s93
	s_mul_i32 s15, s15, s93
	s_mul_hi_u32 s43, s17, s96
	s_mul_i32 s17, s17, s96
	;; [unrolled: 2-line block ×4, first 2 shown]
	s_and_b32 s0, s10, 0x3ffffff
	s_lshr_b64 s[12:13], s[10:11], 26
	s_add_u32 s15, s15, s17
	s_addc_u32 s17, s42, s43
	s_add_u32 s15, s15, s41
	s_addc_u32 s17, s17, s40
	;; [unrolled: 2-line block ×4, first 2 shown]
	s_mul_hi_u32 s46, s14, s33
	s_mul_i32 s14, s14, s33
	s_add_u32 s15, s15, s35
	s_addc_u32 s17, s17, s34
	s_mul_hi_u32 s45, s16, s98
	s_mul_i32 s16, s16, s98
	s_add_u32 s14, s15, s14
	s_addc_u32 s15, s17, s46
	;; [unrolled: 4-line block ×3, first 2 shown]
	s_add_u32 s7, s14, s7
	s_addc_u32 s14, s15, s44
	s_mul_i32 s20, s0, 0x3d10
	s_add_u32 s7, s7, s24
	s_mul_hi_u32 s9, s0, 0x3d10
	s_addc_u32 s14, s14, s25
	s_add_u32 s7, s7, s20
	s_addc_u32 s9, s14, s9
	s_lshl_b64 s[14:15], s[0:1], 10
	s_lshl_b64 s[12:13], s[12:13], 14
	s_add_u32 s0, s3, s4
	s_addc_u32 s1, s21, s5
	v_alignbit_b32 v0, s11, s10, 26
	s_lshr_b64 s[4:5], s[0:1], 26
	v_mov_b32_e32 v8, 0
	s_add_u32 s4, s23, s4
	s_addc_u32 s5, s22, s5
	v_mul_lo_u32 v1, 0x3d10, v0
	s_lshr_b64 s[10:11], s[4:5], 26
	v_mul_hi_u32 v0, 0x3d10, v0
	s_add_u32 s10, s28, s10
	s_addc_u32 s11, s29, s11
	s_delay_alu instid0(SALU_CYCLE_1) | instskip(NEXT) | instid1(SALU_CYCLE_1)
	s_lshr_b64 s[16:17], s[10:11], 26
	s_add_u32 s16, s30, s16
	s_delay_alu instid0(VALU_DEP_2) | instskip(SKIP_1) | instid1(VALU_DEP_2)
	v_add_co_u32 v1, vcc_lo, v1, s6
	s_addc_u32 s17, s31, s17
	v_add_co_ci_u32_e32 v0, vcc_lo, 0, v0, vcc_lo
	s_lshr_b64 s[20:21], s[16:17], 26
	s_delay_alu instid0(VALU_DEP_2)
	v_add_co_u32 v1, vcc_lo, v1, s14
	s_add_u32 s6, s7, s20
	s_addc_u32 s7, s9, s21
	v_add_co_ci_u32_e32 v2, vcc_lo, s15, v0, vcc_lo
	s_lshr_b64 s[14:15], s[6:7], 26
	s_lshr_b32 s1, s6, 8
	v_add_co_u32 v0, vcc_lo, v1, s14
	s_delay_alu instid0(VALU_DEP_2) | instskip(SKIP_3) | instid1(VALU_DEP_1)
	v_add_co_ci_u32_e32 v1, vcc_lo, s15, v2, vcc_lo
	s_lshl_b32 s9, s10, 4
	s_bfe_u32 s11, s4, 0x40016
	s_bfe_u32 s3, s6, 0x20018
	v_lshrrev_b64 v[1:2], 22, v[0:1]
	s_or_b32 s9, s9, s11
	s_lshr_b32 s11, s4, 14
	v_and_b32_e64 v9, 0xff, s9
	v_lshlrev_b16 v10, 8, s11
	s_lshl_b32 s5, s16, 6
	v_add_co_u32 v1, vcc_lo, v1, s12
	v_add_co_ci_u32_e32 v2, vcc_lo, s13, v2, vcc_lo
	s_bfe_u32 s7, s10, 0x60014
	s_delay_alu instid0(VALU_DEP_2) | instskip(SKIP_1) | instid1(VALU_DEP_3)
	v_mul_hi_u32 v4, 0x3d1, v1
	v_mul_lo_u32 v5, 0x3d1, v1
	v_mul_lo_u32 v3, 0x3d1, v2
	v_lshlrev_b64 v[1:2], 6, v[1:2]
	s_lshl_b32 s12, s4, 2
	s_bfe_u32 s13, s0, 0x20018
	s_or_b32 s5, s5, s7
	s_lshr_b32 s7, s10, 12
	s_lshr_b32 s10, s10, 4
	;; [unrolled: 1-line block ×3, first 2 shown]
	v_add_nc_u32_e32 v3, v4, v3
	v_add_co_u32 v4, vcc_lo, v5, s8
	s_lshr_b32 s8, s16, 2
	s_or_b32 s9, s12, s13
	s_delay_alu instid0(VALU_DEP_2) | instskip(SKIP_2) | instid1(VALU_DEP_3)
	v_add_co_ci_u32_e32 v5, vcc_lo, 0, v3, vcc_lo
	v_add_co_u32 v1, vcc_lo, v1, s18
	v_add_co_ci_u32_e32 v2, vcc_lo, 0, v2, vcc_lo
	v_lshrrev_b64 v[5:6], 26, v[4:5]
	v_lshlrev_b16 v3, 8, s1
	s_lshr_b32 s1, s16, 18
	v_or_b32_e32 v9, v9, v10
	v_lshlrev_b16 v10, 8, s9
	v_and_b32_e64 v11, 0xff, s4
	v_add_co_u32 v5, vcc_lo, v1, v5
	v_add_co_ci_u32_e32 v1, vcc_lo, v2, v6, vcc_lo
	v_lshlrev_b32_e32 v2, 2, v0
	v_and_b32_e32 v3, 0xffff, v3
	v_lshlrev_b16 v12, 8, s5
	s_delay_alu instid0(VALU_DEP_4)
	v_alignbit_b32 v1, v1, v5, 26
	v_and_b32_e64 v13, 0xff, s8
	v_or_b32_e32 v7, s3, v2
	v_lshlrev_b16 v2, 8, s1
	v_lshlrev_b16 v14, 8, s10
	v_and_b32_e64 v15, 0xff, s7
	v_add_nc_u32_e32 v6, s19, v1
	v_lshrrev_b32_e32 v1, 14, v0
	v_lshrrev_b32_e32 v2, 8, v2
	;; [unrolled: 1-line block ×3, first 2 shown]
	s_lshr_b32 s1, s16, 10
	v_lshrrev_b32_e32 v3, 8, v3
	v_or_b32_e32 v10, v11, v10
	v_and_b32_e32 v2, 0xff, v2
	v_or_b32_e32 v11, v13, v12
	v_or_b32_e32 v12, v15, v14
	v_lshlrev_b16 v13, 8, s6
	v_lshlrev_b16 v14, 8, s1
	;; [unrolled: 1-line block ×3, first 2 shown]
	v_and_b32_e32 v1, 0xff, v1
	v_and_b32_e32 v9, 0xffff, v9
	v_lshlrev_b32_e32 v10, 16, v10
	v_and_b32_e32 v11, 0xffff, v11
	v_lshlrev_b32_e32 v12, 16, v12
	v_or_b32_e32 v13, v3, v13
	v_or_b32_e32 v14, v2, v14
	s_lshr_b32 s3, s6, 16
	v_or_b32_e32 v0, v1, v0
	v_and_b32_e32 v1, 0xff, v7
	v_lshlrev_b16 v7, 8, s3
	s_lshr_b32 s1, s0, 16
	s_lshr_b32 s3, s0, 8
	v_or_b32_e32 v3, v9, v10
	v_or_b32_e32 v2, v11, v12
	v_and_b32_e32 v9, 0xffff, v13
	v_lshlrev_b32_e32 v10, 16, v14
	v_lshlrev_b16 v11, 8, s3
	v_and_b32_e64 v12, 0xff, s1
	v_or_b32_e32 v7, v1, v7
	s_lshr_b32 s4, s2, 18
	v_or_b32_e32 v1, v9, v10
	v_lshlrev_b16 v13, 8, s4
	v_or_b32_e32 v9, v12, v11
	v_lshlrev_b32_e32 v11, 2, v5
	v_bfe_u32 v12, v4, 24, 2
	v_and_b32_e64 v14, 0xff, s0
	v_bfe_u32 v15, v5, 22, 4
	s_lshr_b32 s0, s2, 10
	s_lshr_b32 s1, s2, 2
	v_or_b32_e32 v11, v11, v12
	v_lshrrev_b32_e32 v12, 16, v4
	v_or_b32_e32 v10, v14, v13
	v_bfe_u32 v13, v6, 20, 6
	v_lshlrev_b32_e32 v14, 4, v6
	v_and_b32_e32 v11, 0xff, v11
	v_lshlrev_b16 v12, 8, v12
	s_lshl_b32 s2, s2, 6
	v_lshrrev_b32_e32 v16, 12, v6
	v_or_b32_e32 v13, s2, v13
	v_lshrrev_b32_e32 v6, 4, v6
	v_or_b32_e32 v11, v11, v12
	v_or_b32_e32 v12, v14, v15
	v_lshrrev_b32_e32 v14, 8, v4
	v_lshrrev_b32_e32 v15, 14, v5
	;; [unrolled: 1-line block ×3, first 2 shown]
	v_lshlrev_b16 v4, 8, v4
	v_and_b32_e32 v6, 0xff, v6
	v_and_b32_e32 v14, 0xff, v14
	v_lshlrev_b16 v12, 8, v12
	v_lshlrev_b16 v5, 8, v5
	v_and_b32_e32 v15, 0xff, v15
	v_lshlrev_b16 v16, 8, v16
	v_and_b32_e32 v13, 0xff, v13
	v_lshlrev_b16 v17, 8, s1
	v_and_b32_e64 v18, 0xff, s0
	v_or_b32_e32 v4, v14, v4
	v_or_b32_e32 v6, v6, v12
	;; [unrolled: 1-line block ×5, first 2 shown]
	v_and_b32_e32 v0, 0xffff, v0
	v_lshlrev_b32_e32 v7, 16, v7
	v_and_b32_e32 v9, 0xffff, v9
	v_lshlrev_b32_e32 v10, 16, v10
	;; [unrolled: 2-line block ×4, first 2 shown]
	v_lshlrev_b32_e32 v12, 16, v12
	v_and_b32_e32 v13, 0xffff, v13
	v_or_b32_e32 v0, v0, v7
	v_or_b32_e32 v4, v9, v10
	;; [unrolled: 1-line block ×5, first 2 shown]
	s_clause 0x1
	global_store_b128 v8, v[0:3], s[94:95]
	global_store_b128 v8, v[4:7], s[94:95] offset:16
	s_nop 0
	s_sendmsg sendmsg(MSG_DEALLOC_VGPRS)
	s_endpgm
	.section	.rodata,"a",@progbits
	.p2align	6, 0x0
	.amdhsa_kernel _Z9secp256k1PK20secp256k1_ge_storagePh
		.amdhsa_group_segment_fixed_size 0
		.amdhsa_private_segment_fixed_size 0
		.amdhsa_kernarg_size 16
		.amdhsa_user_sgpr_count 15
		.amdhsa_user_sgpr_dispatch_ptr 0
		.amdhsa_user_sgpr_queue_ptr 0
		.amdhsa_user_sgpr_kernarg_segment_ptr 1
		.amdhsa_user_sgpr_dispatch_id 0
		.amdhsa_user_sgpr_private_segment_size 0
		.amdhsa_wavefront_size32 1
		.amdhsa_uses_dynamic_stack 0
		.amdhsa_enable_private_segment 0
		.amdhsa_system_sgpr_workgroup_id_x 1
		.amdhsa_system_sgpr_workgroup_id_y 0
		.amdhsa_system_sgpr_workgroup_id_z 0
		.amdhsa_system_sgpr_workgroup_info 0
		.amdhsa_system_vgpr_workitem_id 0
		.amdhsa_next_free_vgpr 21
		.amdhsa_next_free_sgpr 105
		.amdhsa_reserve_vcc 1
		.amdhsa_float_round_mode_32 0
		.amdhsa_float_round_mode_16_64 0
		.amdhsa_float_denorm_mode_32 3
		.amdhsa_float_denorm_mode_16_64 3
		.amdhsa_dx10_clamp 1
		.amdhsa_ieee_mode 1
		.amdhsa_fp16_overflow 0
		.amdhsa_workgroup_processor_mode 1
		.amdhsa_memory_ordered 1
		.amdhsa_forward_progress 0
		.amdhsa_shared_vgpr_count 0
		.amdhsa_exception_fp_ieee_invalid_op 0
		.amdhsa_exception_fp_denorm_src 0
		.amdhsa_exception_fp_ieee_div_zero 0
		.amdhsa_exception_fp_ieee_overflow 0
		.amdhsa_exception_fp_ieee_underflow 0
		.amdhsa_exception_fp_ieee_inexact 0
		.amdhsa_exception_int_div_zero 0
	.end_amdhsa_kernel
	.text
.Lfunc_end0:
	.size	_Z9secp256k1PK20secp256k1_ge_storagePh, .Lfunc_end0-_Z9secp256k1PK20secp256k1_ge_storagePh
                                        ; -- End function
	.section	.AMDGPU.csdata,"",@progbits
; Kernel info:
; codeLenInByte = 92336
; NumSgprs: 107
; NumVgprs: 21
; ScratchSize: 0
; MemoryBound: 0
; FloatMode: 240
; IeeeMode: 1
; LDSByteSize: 0 bytes/workgroup (compile time only)
; SGPRBlocks: 13
; VGPRBlocks: 2
; NumSGPRsForWavesPerEU: 107
; NumVGPRsForWavesPerEU: 21
; Occupancy: 16
; WaveLimiterHint : 0
; COMPUTE_PGM_RSRC2:SCRATCH_EN: 0
; COMPUTE_PGM_RSRC2:USER_SGPR: 15
; COMPUTE_PGM_RSRC2:TRAP_HANDLER: 0
; COMPUTE_PGM_RSRC2:TGID_X_EN: 1
; COMPUTE_PGM_RSRC2:TGID_Y_EN: 0
; COMPUTE_PGM_RSRC2:TGID_Z_EN: 0
; COMPUTE_PGM_RSRC2:TIDIG_COMP_CNT: 0
	.text
	.p2alignl 7, 3214868480
	.fill 96, 4, 3214868480
	.type	__hip_cuid_d29da3f5f772b415,@object ; @__hip_cuid_d29da3f5f772b415
	.section	.bss,"aw",@nobits
	.globl	__hip_cuid_d29da3f5f772b415
__hip_cuid_d29da3f5f772b415:
	.byte	0                               ; 0x0
	.size	__hip_cuid_d29da3f5f772b415, 1

	.ident	"AMD clang version 19.0.0git (https://github.com/RadeonOpenCompute/llvm-project roc-6.4.0 25133 c7fe45cf4b819c5991fe208aaa96edf142730f1d)"
	.section	".note.GNU-stack","",@progbits
	.addrsig
	.addrsig_sym __hip_cuid_d29da3f5f772b415
	.amdgpu_metadata
---
amdhsa.kernels:
  - .args:
      - .address_space:  global
        .offset:         0
        .size:           8
        .value_kind:     global_buffer
      - .address_space:  global
        .offset:         8
        .size:           8
        .value_kind:     global_buffer
    .group_segment_fixed_size: 0
    .kernarg_segment_align: 8
    .kernarg_segment_size: 16
    .language:       OpenCL C
    .language_version:
      - 2
      - 0
    .max_flat_workgroup_size: 1024
    .name:           _Z9secp256k1PK20secp256k1_ge_storagePh
    .private_segment_fixed_size: 0
    .sgpr_count:     107
    .sgpr_spill_count: 62
    .symbol:         _Z9secp256k1PK20secp256k1_ge_storagePh.kd
    .uniform_work_group_size: 1
    .uses_dynamic_stack: false
    .vgpr_count:     21
    .vgpr_spill_count: 0
    .wavefront_size: 32
    .workgroup_processor_mode: 1
amdhsa.target:   amdgcn-amd-amdhsa--gfx1100
amdhsa.version:
  - 1
  - 2
...

	.end_amdgpu_metadata
